;; amdgpu-corpus repo=ROCm/rocFFT kind=compiled arch=gfx950 opt=O3
	.text
	.amdgcn_target "amdgcn-amd-amdhsa--gfx950"
	.amdhsa_code_object_version 6
	.protected	fft_rtc_back_len1980_factors_11_2_3_3_5_2_wgs_198_tpt_198_halfLds_half_op_CI_CI_unitstride_sbrr_R2C_dirReg ; -- Begin function fft_rtc_back_len1980_factors_11_2_3_3_5_2_wgs_198_tpt_198_halfLds_half_op_CI_CI_unitstride_sbrr_R2C_dirReg
	.globl	fft_rtc_back_len1980_factors_11_2_3_3_5_2_wgs_198_tpt_198_halfLds_half_op_CI_CI_unitstride_sbrr_R2C_dirReg
	.p2align	8
	.type	fft_rtc_back_len1980_factors_11_2_3_3_5_2_wgs_198_tpt_198_halfLds_half_op_CI_CI_unitstride_sbrr_R2C_dirReg,@function
fft_rtc_back_len1980_factors_11_2_3_3_5_2_wgs_198_tpt_198_halfLds_half_op_CI_CI_unitstride_sbrr_R2C_dirReg: ; @fft_rtc_back_len1980_factors_11_2_3_3_5_2_wgs_198_tpt_198_halfLds_half_op_CI_CI_unitstride_sbrr_R2C_dirReg
; %bb.0:
	s_load_dwordx4 s[4:7], s[0:1], 0x58
	s_load_dwordx4 s[8:11], s[0:1], 0x0
	;; [unrolled: 1-line block ×3, first 2 shown]
	v_mul_u32_u24_e32 v1, 0x14b, v0
	v_add_u32_sdwa v10, s2, v1 dst_sel:DWORD dst_unused:UNUSED_PAD src0_sel:DWORD src1_sel:WORD_1
	v_mov_b32_e32 v6, 0
	s_waitcnt lgkmcnt(0)
	v_cmp_lt_u64_e64 s[2:3], s[10:11], 2
	v_mov_b32_e32 v11, v6
	s_and_b64 vcc, exec, s[2:3]
	v_mov_b64_e32 v[8:9], 0
	s_cbranch_vccnz .LBB0_8
; %bb.1:
	s_load_dwordx2 s[2:3], s[0:1], 0x10
	s_add_u32 s16, s14, 8
	s_addc_u32 s17, s15, 0
	s_add_u32 s18, s12, 8
	s_addc_u32 s19, s13, 0
	s_waitcnt lgkmcnt(0)
	s_add_u32 s20, s2, 8
	v_mov_b64_e32 v[8:9], 0
	s_addc_u32 s21, s3, 0
	s_mov_b64 s[22:23], 1
	v_mov_b64_e32 v[2:3], v[8:9]
.LBB0_2:                                ; =>This Inner Loop Header: Depth=1
	s_load_dwordx2 s[24:25], s[20:21], 0x0
                                        ; implicit-def: $vgpr4_vgpr5
	s_waitcnt lgkmcnt(0)
	v_or_b32_e32 v7, s25, v11
	v_cmp_ne_u64_e32 vcc, 0, v[6:7]
	s_and_saveexec_b64 s[2:3], vcc
	s_xor_b64 s[26:27], exec, s[2:3]
	s_cbranch_execz .LBB0_4
; %bb.3:                                ;   in Loop: Header=BB0_2 Depth=1
	v_cvt_f32_u32_e32 v1, s24
	v_cvt_f32_u32_e32 v4, s25
	s_sub_u32 s2, 0, s24
	s_subb_u32 s3, 0, s25
	v_fmac_f32_e32 v1, 0x4f800000, v4
	v_rcp_f32_e32 v1, v1
	s_nop 0
	v_mul_f32_e32 v1, 0x5f7ffffc, v1
	v_mul_f32_e32 v4, 0x2f800000, v1
	v_trunc_f32_e32 v4, v4
	v_fmac_f32_e32 v1, 0xcf800000, v4
	v_cvt_u32_f32_e32 v7, v4
	v_cvt_u32_f32_e32 v1, v1
	v_mul_lo_u32 v4, s2, v7
	v_mul_hi_u32 v12, s2, v1
	v_mul_lo_u32 v5, s3, v1
	v_add_u32_e32 v12, v12, v4
	v_mul_lo_u32 v14, s2, v1
	v_add_u32_e32 v15, v12, v5
	v_mul_hi_u32 v4, v1, v14
	v_mul_hi_u32 v13, v1, v15
	v_mul_lo_u32 v12, v1, v15
	v_mov_b32_e32 v5, v6
	v_lshl_add_u64 v[4:5], v[4:5], 0, v[12:13]
	v_mul_hi_u32 v13, v7, v14
	v_mul_lo_u32 v14, v7, v14
	v_add_co_u32_e32 v4, vcc, v4, v14
	v_mul_hi_u32 v12, v7, v15
	s_nop 0
	v_addc_co_u32_e32 v4, vcc, v5, v13, vcc
	v_mov_b32_e32 v5, v6
	s_nop 0
	v_addc_co_u32_e32 v13, vcc, 0, v12, vcc
	v_mul_lo_u32 v12, v7, v15
	v_lshl_add_u64 v[4:5], v[4:5], 0, v[12:13]
	v_add_co_u32_e32 v1, vcc, v1, v4
	v_mul_lo_u32 v12, s2, v1
	s_nop 0
	v_addc_co_u32_e32 v7, vcc, v7, v5, vcc
	v_mul_lo_u32 v4, s2, v7
	v_mul_hi_u32 v5, s2, v1
	v_add_u32_e32 v4, v5, v4
	v_mul_lo_u32 v5, s3, v1
	v_add_u32_e32 v14, v4, v5
	v_mul_hi_u32 v16, v7, v12
	v_mul_lo_u32 v17, v7, v12
	v_mul_hi_u32 v5, v1, v14
	v_mul_lo_u32 v4, v1, v14
	v_mul_hi_u32 v12, v1, v12
	v_mov_b32_e32 v13, v6
	v_lshl_add_u64 v[4:5], v[12:13], 0, v[4:5]
	v_add_co_u32_e32 v4, vcc, v4, v17
	v_mul_hi_u32 v15, v7, v14
	s_nop 0
	v_addc_co_u32_e32 v4, vcc, v5, v16, vcc
	v_mul_lo_u32 v12, v7, v14
	s_nop 0
	v_addc_co_u32_e32 v13, vcc, 0, v15, vcc
	v_mov_b32_e32 v5, v6
	v_lshl_add_u64 v[4:5], v[4:5], 0, v[12:13]
	v_add_co_u32_e32 v1, vcc, v1, v4
	v_mul_hi_u32 v12, v10, v1
	s_nop 0
	v_addc_co_u32_e32 v7, vcc, v7, v5, vcc
	v_mad_u64_u32 v[4:5], s[2:3], v10, v7, 0
	v_mov_b32_e32 v13, v6
	v_lshl_add_u64 v[4:5], v[12:13], 0, v[4:5]
	v_mad_u64_u32 v[14:15], s[2:3], v11, v1, 0
	v_add_co_u32_e32 v1, vcc, v4, v14
	v_mad_u64_u32 v[12:13], s[2:3], v11, v7, 0
	s_nop 0
	v_addc_co_u32_e32 v4, vcc, v5, v15, vcc
	v_mov_b32_e32 v5, v6
	s_nop 0
	v_addc_co_u32_e32 v13, vcc, 0, v13, vcc
	v_lshl_add_u64 v[4:5], v[4:5], 0, v[12:13]
	v_mul_lo_u32 v1, s25, v4
	v_mul_lo_u32 v7, s24, v5
	v_mad_u64_u32 v[12:13], s[2:3], s24, v4, 0
	v_add3_u32 v1, v13, v7, v1
	v_sub_u32_e32 v7, v11, v1
	v_mov_b32_e32 v13, s25
	v_sub_co_u32_e32 v16, vcc, v10, v12
	v_lshl_add_u64 v[14:15], v[4:5], 0, 1
	s_nop 0
	v_subb_co_u32_e64 v7, s[2:3], v7, v13, vcc
	v_subrev_co_u32_e64 v12, s[2:3], s24, v16
	v_subb_co_u32_e32 v1, vcc, v11, v1, vcc
	s_nop 0
	v_subbrev_co_u32_e64 v7, s[2:3], 0, v7, s[2:3]
	v_cmp_le_u32_e64 s[2:3], s25, v7
	v_cmp_le_u32_e32 vcc, s25, v1
	s_nop 0
	v_cndmask_b32_e64 v13, 0, -1, s[2:3]
	v_cmp_le_u32_e64 s[2:3], s24, v12
	s_nop 1
	v_cndmask_b32_e64 v12, 0, -1, s[2:3]
	v_cmp_eq_u32_e64 s[2:3], s25, v7
	s_nop 1
	v_cndmask_b32_e64 v7, v13, v12, s[2:3]
	v_lshl_add_u64 v[12:13], v[4:5], 0, 2
	v_cmp_ne_u32_e64 s[2:3], 0, v7
	s_nop 1
	v_cndmask_b32_e64 v7, v15, v13, s[2:3]
	v_cndmask_b32_e64 v13, 0, -1, vcc
	v_cmp_le_u32_e32 vcc, s24, v16
	s_nop 1
	v_cndmask_b32_e64 v15, 0, -1, vcc
	v_cmp_eq_u32_e32 vcc, s25, v1
	s_nop 1
	v_cndmask_b32_e32 v1, v13, v15, vcc
	v_cmp_ne_u32_e32 vcc, 0, v1
	v_cndmask_b32_e64 v1, v14, v12, s[2:3]
	s_nop 0
	v_cndmask_b32_e32 v5, v5, v7, vcc
	v_cndmask_b32_e32 v4, v4, v1, vcc
.LBB0_4:                                ;   in Loop: Header=BB0_2 Depth=1
	s_andn2_saveexec_b64 s[2:3], s[26:27]
	s_cbranch_execz .LBB0_6
; %bb.5:                                ;   in Loop: Header=BB0_2 Depth=1
	v_cvt_f32_u32_e32 v1, s24
	s_sub_i32 s26, 0, s24
	v_rcp_iflag_f32_e32 v1, v1
	s_nop 0
	v_mul_f32_e32 v1, 0x4f7ffffe, v1
	v_cvt_u32_f32_e32 v1, v1
	v_mul_lo_u32 v4, s26, v1
	v_mul_hi_u32 v4, v1, v4
	v_add_u32_e32 v1, v1, v4
	v_mul_hi_u32 v1, v10, v1
	v_mul_lo_u32 v4, v1, s24
	v_sub_u32_e32 v4, v10, v4
	v_add_u32_e32 v5, 1, v1
	v_subrev_u32_e32 v7, s24, v4
	v_cmp_le_u32_e32 vcc, s24, v4
	s_nop 1
	v_cndmask_b32_e32 v4, v4, v7, vcc
	v_cndmask_b32_e32 v1, v1, v5, vcc
	v_add_u32_e32 v5, 1, v1
	v_cmp_le_u32_e32 vcc, s24, v4
	s_nop 1
	v_cndmask_b32_e32 v4, v1, v5, vcc
	v_mov_b32_e32 v5, v6
.LBB0_6:                                ;   in Loop: Header=BB0_2 Depth=1
	s_or_b64 exec, exec, s[2:3]
	v_mad_u64_u32 v[12:13], s[2:3], v4, s24, 0
	s_load_dwordx2 s[2:3], s[18:19], 0x0
	v_mul_lo_u32 v1, v5, s24
	v_mul_lo_u32 v7, v4, s25
	s_load_dwordx2 s[24:25], s[16:17], 0x0
	s_add_u32 s22, s22, 1
	v_add3_u32 v1, v13, v7, v1
	v_sub_co_u32_e32 v7, vcc, v10, v12
	s_addc_u32 s23, s23, 0
	s_nop 0
	v_subb_co_u32_e32 v1, vcc, v11, v1, vcc
	s_add_u32 s16, s16, 8
	s_waitcnt lgkmcnt(0)
	v_mul_lo_u32 v10, s2, v1
	v_mul_lo_u32 v11, s3, v7
	v_mad_u64_u32 v[8:9], s[2:3], s2, v7, v[8:9]
	s_addc_u32 s17, s17, 0
	v_add3_u32 v9, v11, v9, v10
	v_mul_lo_u32 v1, s24, v1
	v_mul_lo_u32 v10, s25, v7
	v_mad_u64_u32 v[2:3], s[2:3], s24, v7, v[2:3]
	s_add_u32 s18, s18, 8
	v_add3_u32 v3, v10, v3, v1
	s_addc_u32 s19, s19, 0
	v_mov_b64_e32 v[10:11], s[10:11]
	s_add_u32 s20, s20, 8
	v_cmp_ge_u64_e32 vcc, s[22:23], v[10:11]
	s_addc_u32 s21, s21, 0
	s_cbranch_vccnz .LBB0_9
; %bb.7:                                ;   in Loop: Header=BB0_2 Depth=1
	v_mov_b64_e32 v[10:11], v[4:5]
	s_branch .LBB0_2
.LBB0_8:
	v_mov_b64_e32 v[2:3], v[8:9]
	v_mov_b64_e32 v[4:5], v[10:11]
.LBB0_9:
	s_load_dwordx2 s[18:19], s[0:1], 0x28
	s_lshl_b64 s[16:17], s[10:11], 3
	s_add_u32 s2, s14, s16
	s_addc_u32 s3, s15, s17
                                        ; implicit-def: $vgpr6
	s_waitcnt lgkmcnt(0)
	v_cmp_gt_u64_e64 s[0:1], s[18:19], v[4:5]
	v_cmp_le_u64_e32 vcc, s[18:19], v[4:5]
	s_and_saveexec_b64 s[10:11], vcc
	s_xor_b64 s[10:11], exec, s[10:11]
; %bb.10:
	s_mov_b32 s14, 0x14afd6b
	v_mul_hi_u32 v1, v0, s14
	v_mul_u32_u24_e32 v1, 0xc6, v1
	v_sub_u32_e32 v6, v0, v1
                                        ; implicit-def: $vgpr0
                                        ; implicit-def: $vgpr8_vgpr9
; %bb.11:
	s_andn2_saveexec_b64 s[10:11], s[10:11]
	s_cbranch_execz .LBB0_13
; %bb.12:
	s_add_u32 s12, s12, s16
	s_addc_u32 s13, s13, s17
	s_load_dwordx2 s[12:13], s[12:13], 0x0
	s_mov_b32 s14, 0x14afd6b
	s_waitcnt lgkmcnt(0)
	v_mul_lo_u32 v1, s13, v4
	v_mul_lo_u32 v6, s12, v5
	v_mad_u64_u32 v[10:11], s[12:13], s12, v4, 0
	v_add3_u32 v11, v11, v6, v1
	v_mul_hi_u32 v1, v0, s14
	v_mul_u32_u24_e32 v1, 0xc6, v1
	v_sub_u32_e32 v6, v0, v1
	v_lshl_add_u64 v[0:1], v[10:11], 2, s[4:5]
	v_lshl_add_u64 v[0:1], v[8:9], 2, v[0:1]
	v_lshlrev_b32_e32 v8, 2, v6
	v_mov_b32_e32 v9, 0
	v_lshl_add_u64 v[0:1], v[0:1], 0, v[8:9]
	v_add_co_u32_e32 v10, vcc, 0x1000, v0
	s_nop 1
	v_addc_co_u32_e32 v11, vcc, 0, v1, vcc
	global_load_dword v7, v[0:1], off
	global_load_dword v9, v[0:1], off offset:792
	global_load_dword v12, v[0:1], off offset:1584
	;; [unrolled: 1-line block ×9, first 2 shown]
	v_add_u32_e32 v0, 0, v8
	v_add_u32_e32 v1, 0x600, v0
	;; [unrolled: 1-line block ×5, first 2 shown]
	s_waitcnt vmcnt(8)
	ds_write2_b32 v0, v7, v9 offset1:198
	s_waitcnt vmcnt(6)
	ds_write2_b32 v1, v12, v13 offset0:12 offset1:210
	s_waitcnt vmcnt(4)
	ds_write2_b32 v8, v14, v15 offset0:24 offset1:222
	;; [unrolled: 2-line block ×4, first 2 shown]
.LBB0_13:
	s_or_b64 exec, exec, s[10:11]
	v_lshl_add_u32 v16, v6, 2, 0
	v_add_u32_e32 v7, 0x500, v16
	s_waitcnt lgkmcnt(0)
	s_barrier
	ds_read2_b32 v[8:9], v7 offset0:40 offset1:220
	v_add_u32_e32 v7, 0xb00, v16
	ds_read2_b32 v[0:1], v16 offset1:180
	ds_read2_b32 v[10:11], v7 offset0:16 offset1:196
	ds_read_b32 v22, v16 offset:7200
	v_add_u32_e32 v7, 0x1600, v16
	ds_read2_b32 v[12:13], v7 offset0:32 offset1:212
	v_add_u32_e32 v7, 0x1000, v16
	ds_read2_b32 v[14:15], v7 offset0:56 offset1:236
	s_waitcnt lgkmcnt(2)
	v_pk_add_f16 v17, v1, v22 neg_lo:[0,1] neg_hi:[0,1]
	s_mov_b32 s18, 0xb853
	v_pk_add_f16 v24, v22, v1
	s_waitcnt lgkmcnt(1)
	v_pk_add_f16 v18, v8, v13 neg_lo:[0,1] neg_hi:[0,1]
	v_pk_mul_f16 v7, v17, s18 op_sel_hi:[1,0]
	s_movk_i32 s13, 0x3abb
	s_mov_b32 s19, 0xbb47
	v_pk_add_f16 v25, v13, v8
	v_pk_add_f16 v20, v9, v12 neg_lo:[0,1] neg_hi:[0,1]
	v_pk_fma_f16 v28, v24, s13, v7 op_sel:[0,0,1] op_sel_hi:[1,0,0] neg_lo:[0,0,1] neg_hi:[0,0,1]
	v_pk_fma_f16 v29, v24, s13, v7 op_sel:[0,0,1] op_sel_hi:[1,0,0]
	v_pk_mul_f16 v7, v18, s19 op_sel_hi:[1,0]
	s_movk_i32 s15, 0x36a6
	s_mov_b32 s10, 0xbbeb
	v_pk_add_f16 v26, v12, v9
	s_waitcnt lgkmcnt(0)
	v_pk_add_f16 v21, v10, v15 neg_lo:[0,1] neg_hi:[0,1]
	v_pk_fma_f16 v32, v25, s15, v7 op_sel:[0,0,1] op_sel_hi:[1,0,0] neg_lo:[0,0,1] neg_hi:[0,0,1]
	v_pk_fma_f16 v33, v25, s15, v7 op_sel:[0,0,1] op_sel_hi:[1,0,0]
	v_pk_mul_f16 v7, v20, s10 op_sel_hi:[1,0]
	s_mov_b32 s14, 0xb08e
	s_mov_b32 s11, 0xba0c
	v_pk_add_f16 v27, v15, v10
	v_pk_fma_f16 v34, v26, s14, v7 op_sel:[0,0,1] op_sel_hi:[1,0,0] neg_lo:[0,0,1] neg_hi:[0,0,1]
	v_pk_fma_f16 v35, v26, s14, v7 op_sel:[0,0,1] op_sel_hi:[1,0,0]
	v_pk_mul_f16 v7, v21, s11 op_sel_hi:[1,0]
	s_mov_b32 s16, 0xb93d
	v_pk_fma_f16 v36, v27, s16, v7 op_sel:[0,0,1] op_sel_hi:[1,0,0] neg_lo:[0,0,1] neg_hi:[0,0,1]
	v_pk_fma_f16 v37, v27, s16, v7 op_sel:[0,0,1] op_sel_hi:[1,0,0]
	v_add_f16_e32 v7, v0, v28
	v_pk_add_f16 v38, v14, v11
	v_pk_add_f16 v23, v11, v14 neg_lo:[0,1] neg_hi:[0,1]
	s_mov_b32 s17, 0xbbad
	s_mov_b32 s12, 0xb482
	v_add_f16_e32 v7, v32, v7
	v_pk_mul_f16 v30, v38, s17 op_sel_hi:[1,0]
	v_pk_mul_f16 v31, v23, s12 op_sel_hi:[1,0]
	v_add_f16_e32 v7, v34, v7
	v_add_f16_e32 v7, v36, v7
	v_sub_f16_sdwa v19, v30, v31 dst_sel:DWORD dst_unused:UNUSED_PAD src0_sel:DWORD src1_sel:WORD_1
	v_add_f16_e32 v7, v19, v7
	v_add_f16_sdwa v19, v0, v29 dst_sel:DWORD dst_unused:UNUSED_PAD src0_sel:WORD_1 src1_sel:WORD_1
	v_add_f16_sdwa v19, v33, v19 dst_sel:DWORD dst_unused:UNUSED_PAD src0_sel:WORD_1 src1_sel:DWORD
	v_add_f16_sdwa v19, v35, v19 dst_sel:DWORD dst_unused:UNUSED_PAD src0_sel:WORD_1 src1_sel:DWORD
	v_add_f16_sdwa v19, v37, v19 dst_sel:DWORD dst_unused:UNUSED_PAD src0_sel:WORD_1 src1_sel:DWORD
	v_add_f16_sdwa v39, v31, v30 dst_sel:DWORD dst_unused:UNUSED_PAD src0_sel:DWORD src1_sel:WORD_1
	s_movk_i32 s4, 0xb4
	v_add_f16_e32 v19, v39, v19
	v_cmp_gt_u32_e32 vcc, s4, v6
	s_barrier
	s_and_saveexec_b64 s[4:5], vcc
	s_cbranch_execz .LBB0_15
; %bb.14:
	v_mul_f16_e32 v39, 0xbb47, v17
	v_lshrrev_b32_e32 v40, 16, v24
	v_fma_f16 v41, v40, s15, v39
	v_mul_f16_e32 v42, 0xba0c, v18
	v_lshrrev_b32_e32 v43, 16, v25
	v_add_f16_sdwa v41, v0, v41 dst_sel:DWORD dst_unused:UNUSED_PAD src0_sel:WORD_1 src1_sel:DWORD
	v_fma_f16 v44, v43, s16, v42
	v_add_f16_e32 v41, v44, v41
	v_mul_f16_e32 v44, 0x3482, v20
	v_lshrrev_b32_e32 v45, 16, v26
	v_fma_f16 v46, v45, s17, v44
	v_add_f16_e32 v41, v46, v41
	v_mul_f16_e32 v46, 0x3beb, v21
	v_lshrrev_b32_e32 v47, 16, v27
	;; [unrolled: 4-line block ×3, first 2 shown]
	v_fma_f16 v50, v49, s13, v48
	v_add_f16_e32 v41, v50, v41
	v_mul_f16_sdwa v50, v17, s19 dst_sel:DWORD dst_unused:UNUSED_PAD src0_sel:WORD_1 src1_sel:DWORD
	v_fma_f16 v51, v24, s15, -v50
	v_mul_f16_sdwa v52, v18, s11 dst_sel:DWORD dst_unused:UNUSED_PAD src0_sel:WORD_1 src1_sel:DWORD
	s_movk_i32 s20, 0x3482
	v_add_f16_e32 v51, v0, v51
	v_fma_f16 v53, v25, s16, -v52
	v_add_f16_e32 v51, v53, v51
	v_mul_f16_sdwa v53, v20, s20 dst_sel:DWORD dst_unused:UNUSED_PAD src0_sel:WORD_1 src1_sel:DWORD
	s_movk_i32 s21, 0x3beb
	v_fma_f16 v54, v26, s17, -v53
	v_add_f16_e32 v51, v54, v51
	v_mul_f16_sdwa v54, v21, s21 dst_sel:DWORD dst_unused:UNUSED_PAD src0_sel:WORD_1 src1_sel:DWORD
	s_movk_i32 s22, 0x3853
	v_fma_f16 v55, v27, s14, -v54
	v_add_f16_e32 v51, v55, v51
	v_mul_f16_sdwa v55, v23, s22 dst_sel:DWORD dst_unused:UNUSED_PAD src0_sel:WORD_1 src1_sel:DWORD
	v_fma_f16 v56, v38, s13, -v55
	v_add_f16_e32 v51, v56, v51
	v_mul_f16_e32 v56, 0xbbeb, v17
	v_fma_f16 v57, v40, s14, v56
	v_mul_f16_e32 v58, 0x3482, v18
	v_add_f16_sdwa v57, v0, v57 dst_sel:DWORD dst_unused:UNUSED_PAD src0_sel:WORD_1 src1_sel:DWORD
	v_fma_f16 v59, v43, s17, v58
	v_add_f16_e32 v57, v59, v57
	v_mul_f16_e32 v59, 0x3b47, v20
	v_fma_f16 v60, v45, s15, v59
	v_add_f16_e32 v57, v60, v57
	v_mul_f16_e32 v60, 0xb853, v21
	;; [unrolled: 3-line block ×3, first 2 shown]
	v_fma_f16 v62, v49, s16, v61
	v_add_f16_e32 v57, v62, v57
	v_mul_f16_sdwa v62, v17, s10 dst_sel:DWORD dst_unused:UNUSED_PAD src0_sel:WORD_1 src1_sel:DWORD
	v_fma_f16 v63, v24, s14, -v62
	v_mul_f16_sdwa v64, v18, s20 dst_sel:DWORD dst_unused:UNUSED_PAD src0_sel:WORD_1 src1_sel:DWORD
	v_add_f16_e32 v63, v0, v63
	v_fma_f16 v65, v25, s17, -v64
	s_movk_i32 s19, 0x3b47
	v_add_f16_e32 v63, v65, v63
	v_mul_f16_sdwa v65, v20, s19 dst_sel:DWORD dst_unused:UNUSED_PAD src0_sel:WORD_1 src1_sel:DWORD
	v_fma_f16 v66, v26, s15, -v65
	v_add_f16_e32 v63, v66, v63
	v_mul_f16_sdwa v66, v21, s18 dst_sel:DWORD dst_unused:UNUSED_PAD src0_sel:WORD_1 src1_sel:DWORD
	v_fma_f16 v67, v27, s13, -v66
	;; [unrolled: 3-line block ×3, first 2 shown]
	v_add_f16_e32 v63, v68, v63
	v_mul_f16_e32 v68, 0xba0c, v17
	v_fma_f16 v69, v40, s16, v68
	v_mul_f16_e32 v70, 0x3beb, v18
	v_add_f16_sdwa v69, v0, v69 dst_sel:DWORD dst_unused:UNUSED_PAD src0_sel:WORD_1 src1_sel:DWORD
	v_fma_f16 v71, v43, s14, v70
	v_add_f16_e32 v69, v71, v69
	v_mul_f16_e32 v71, 0xb853, v20
	v_fma_f16 v72, v45, s13, v71
	v_add_f16_e32 v69, v72, v69
	v_mul_f16_e32 v72, 0xb482, v21
	v_fma_f16 v73, v47, s17, v72
	v_add_f16_e32 v69, v73, v69
	v_mul_f16_e32 v73, 0x3b47, v23
	v_fma_f16 v68, v40, s16, -v68
	v_fma_f16 v56, v40, s14, -v56
	v_fma_f16 v74, v49, s15, v73
	v_add_f16_sdwa v68, v0, v68 dst_sel:DWORD dst_unused:UNUSED_PAD src0_sel:WORD_1 src1_sel:DWORD
	v_fma_f16 v70, v43, s14, -v70
	v_add_f16_sdwa v56, v0, v56 dst_sel:DWORD dst_unused:UNUSED_PAD src0_sel:WORD_1 src1_sel:DWORD
	v_fma_f16 v58, v43, s17, -v58
	v_add_f16_e32 v69, v74, v69
	v_mul_f16_sdwa v74, v17, s11 dst_sel:DWORD dst_unused:UNUSED_PAD src0_sel:WORD_1 src1_sel:DWORD
	v_add_f16_e32 v68, v70, v68
	v_fma_f16 v70, v45, s13, -v71
	v_add_f16_e32 v56, v58, v56
	v_fma_f16 v58, v45, s15, -v59
	v_fma_f16 v75, v24, s16, -v74
	v_mul_f16_sdwa v76, v18, s21 dst_sel:DWORD dst_unused:UNUSED_PAD src0_sel:WORD_1 src1_sel:DWORD
	v_add_f16_e32 v68, v70, v68
	v_fma_f16 v70, v47, s17, -v72
	v_add_f16_e32 v56, v58, v56
	v_fma_f16 v58, v47, s13, -v60
	v_add_f16_e32 v75, v0, v75
	v_fma_f16 v77, v25, s14, -v76
	v_add_f16_e32 v68, v70, v68
	v_fma_f16 v70, v49, s15, -v73
	v_add_f16_e32 v56, v58, v56
	v_fma_f16 v58, v49, s16, -v61
	v_add_f16_e32 v75, v77, v75
	v_mul_f16_sdwa v77, v20, s18 dst_sel:DWORD dst_unused:UNUSED_PAD src0_sel:WORD_1 src1_sel:DWORD
	v_pk_mul_f16 v81, v24, s17 op_sel_hi:[1,0]
	v_add_f16_e32 v68, v70, v68
	v_fma_f16 v70, v24, s16, v74
	v_add_f16_e32 v56, v58, v56
	v_fma_f16 v58, v24, s14, v62
	v_fma_f16 v39, v40, s15, -v39
	v_fma_f16 v24, v24, s15, v50
	v_fma_f16 v78, v26, s13, -v77
	v_pk_mul_f16 v83, v25, s13 op_sel_hi:[1,0]
	v_fma_f16 v71, v25, s14, v76
	v_fma_f16 v59, v25, s17, v64
	v_fma_f16 v40, v43, s16, -v42
	v_add_f16_sdwa v39, v0, v39 dst_sel:DWORD dst_unused:UNUSED_PAD src0_sel:WORD_1 src1_sel:DWORD
	v_add_f16_e32 v24, v0, v24
	v_fma_f16 v25, v25, s16, v52
	v_add_f16_e32 v75, v78, v75
	v_mul_f16_sdwa v78, v21, s12 dst_sel:DWORD dst_unused:UNUSED_PAD src0_sel:WORD_1 src1_sel:DWORD
	v_add_f16_e32 v58, v0, v58
	v_add_f16_e32 v39, v40, v39
	v_fma_f16 v40, v45, s17, -v44
	v_add_f16_e32 v24, v25, v24
	v_fma_f16 v25, v26, s17, v53
	v_fma_f16 v79, v27, s17, -v78
	v_add_f16_e32 v70, v0, v70
	v_add_f16_e32 v58, v59, v58
	v_fma_f16 v59, v26, s15, v65
	v_add_f16_e32 v39, v40, v39
	v_fma_f16 v40, v47, s14, -v46
	v_add_f16_e32 v24, v25, v24
	v_fma_f16 v25, v27, s14, v54
	v_add_f16_e32 v75, v79, v75
	v_mul_f16_sdwa v79, v23, s19 dst_sel:DWORD dst_unused:UNUSED_PAD src0_sel:WORD_1 src1_sel:DWORD
	v_add_f16_e32 v70, v71, v70
	v_fma_f16 v71, v26, s13, v77
	v_add_f16_e32 v58, v59, v58
	v_fma_f16 v59, v27, s13, v66
	v_add_f16_e32 v39, v40, v39
	v_fma_f16 v40, v49, s13, -v48
	v_add_f16_e32 v24, v25, v24
	v_fma_f16 v25, v38, s13, v55
	s_mov_b32 s13, 0xffff
	v_fma_f16 v80, v38, s15, -v79
	v_add_f16_e32 v24, v25, v24
	v_bfi_b32 v25, s13, v29, v28
	v_add_f16_e32 v75, v80, v75
	v_alignbit_b32 v80, v0, v0, 16
	v_pk_add_f16 v25, v0, v25
	v_pk_add_f16 v0, v0, v1
	v_pk_fma_f16 v82, v17, s12, v81 op_sel:[0,0,1] op_sel_hi:[1,0,0]
	v_pk_add_f16 v0, v0, v8
	v_pk_add_f16 v82, v80, v82
	;; [unrolled: 1-line block ×3, first 2 shown]
	v_pk_fma_f16 v84, v18, s22, v83 op_sel:[0,0,1] op_sel_hi:[1,0,0]
	v_pk_add_f16 v0, v0, v10
	v_pk_add_f16 v82, v84, v82
	v_pk_mul_f16 v84, v26, s16 op_sel_hi:[1,0]
	v_pk_add_f16 v0, v0, v11
	v_pk_fma_f16 v85, v20, s11, v84 op_sel:[0,0,1] op_sel_hi:[1,0,0]
	v_bfi_b32 v26, s13, v33, v32
	v_pk_add_f16 v0, v0, v14
	v_pk_add_f16 v82, v85, v82
	v_pk_mul_f16 v85, v27, s15 op_sel_hi:[1,0]
	v_add_f16_e32 v70, v71, v70
	v_fma_f16 v71, v27, s17, v78
	v_bfi_b32 v27, s13, v35, v34
	v_pk_add_f16 v25, v26, v25
	v_pk_add_f16 v0, v0, v15
	v_bfi_b32 v28, s13, v37, v36
	v_pk_add_f16 v25, v27, v25
	v_pk_add_f16 v0, v0, v12
	v_pk_add_f16 v8, v30, v31 op_sel:[0,1] op_sel_hi:[1,0]
	v_pk_add_f16 v9, v30, v31 op_sel:[0,1] op_sel_hi:[1,0] neg_lo:[0,1] neg_hi:[0,1]
	v_add_f16_e32 v58, v59, v58
	v_fma_f16 v59, v38, s16, v67
	v_pk_add_f16 v25, v28, v25
	v_pk_add_f16 v0, v0, v13
	v_bfi_b32 v8, s13, v8, v9
	v_add_f16_e32 v70, v71, v70
	v_fma_f16 v71, v38, s15, v79
	v_add_f16_e32 v58, v59, v58
	v_add_f16_e32 v39, v40, v39
	v_mad_u32_u24 v1, v6, 40, v16
	v_pk_add_f16 v8, v8, v25
	v_pk_add_f16 v0, v0, v22
	v_add_f16_e32 v70, v71, v70
	ds_write2_b32 v1, v0, v8 offset1:1
	v_pack_b32_f16 v0, v58, v56
	v_pack_b32_f16 v8, v24, v39
	ds_write2_b32 v1, v8, v0 offset0:2 offset1:3
	v_pack_b32_f16 v0, v70, v68
	ds_write_b32 v1, v0 offset:16
	v_pk_fma_f16 v0, v17, s12, v81 op_sel:[0,0,1] op_sel_hi:[1,0,0] neg_lo:[1,0,0] neg_hi:[1,0,0]
	v_pk_fma_f16 v8, v18, s22, v83 op_sel:[0,0,1] op_sel_hi:[1,0,0] neg_lo:[1,0,0] neg_hi:[1,0,0]
	v_pk_add_f16 v0, v80, v0
	v_pk_fma_f16 v86, v21, s19, v85 op_sel:[0,0,1] op_sel_hi:[1,0,0]
	v_pk_add_f16 v0, v8, v0
	v_pk_fma_f16 v8, v20, s11, v84 op_sel:[0,0,1] op_sel_hi:[1,0,0] neg_lo:[1,0,0] neg_hi:[1,0,0]
	v_pk_add_f16 v82, v86, v82
	v_pk_mul_f16 v86, v38, s14 op_sel_hi:[1,0]
	v_pk_add_f16 v0, v8, v0
	v_pk_fma_f16 v8, v21, s19, v85 op_sel:[0,0,1] op_sel_hi:[1,0,0] neg_lo:[1,0,0] neg_hi:[1,0,0]
	v_pk_fma_f16 v87, v23, s10, v86 op_sel:[0,0,1] op_sel_hi:[1,0,0]
	v_pk_add_f16 v0, v8, v0
	v_pk_fma_f16 v8, v23, s10, v86 op_sel:[0,0,1] op_sel_hi:[1,0,0] neg_lo:[1,0,0] neg_hi:[1,0,0]
	v_pk_add_f16 v82, v87, v82
	v_pk_add_f16 v0, v8, v0
	s_mov_b32 s10, 0x5040100
	v_alignbit_b32 v8, v82, v0, 16
	v_alignbit_b32 v0, v0, v82, 16
	ds_write2_b32 v1, v0, v8 offset0:5 offset1:6
	v_pack_b32_f16 v0, v63, v57
	v_pack_b32_f16 v8, v75, v69
	ds_write2_b32 v1, v8, v0 offset0:7 offset1:8
	v_pack_b32_f16 v0, v51, v41
	v_perm_b32 v8, v19, v7, s10
	ds_write2_b32 v1, v0, v8 offset0:9 offset1:10
.LBB0_15:
	s_or_b64 exec, exec, s[4:5]
	v_add_u32_e32 v1, 0xc6, v6
	s_mov_b32 s4, 0xba2f
	v_mul_u32_u24_sdwa v21, v1, s4 dst_sel:DWORD dst_unused:UNUSED_PAD src0_sel:WORD_0 src1_sel:DWORD
	v_add_u32_e32 v8, 0x18c, v6
	v_add_u32_e32 v9, 0x318, v6
	v_lshrrev_b32_e32 v26, 19, v21
	v_add_u32_e32 v0, 0x252, v6
	v_mul_lo_u16_e32 v10, 11, v26
	v_mul_u32_u24_sdwa v11, v9, s4 dst_sel:DWORD dst_unused:UNUSED_PAD src0_sel:WORD_0 src1_sel:DWORD
	v_mul_u32_u24_sdwa v22, v8, s4 dst_sel:DWORD dst_unused:UNUSED_PAD src0_sel:WORD_0 src1_sel:DWORD
	v_sub_u16_e32 v10, v1, v10
	v_lshrrev_b32_e32 v27, 19, v11
	v_lshrrev_b32_e32 v30, 19, v22
	v_mul_u32_u24_sdwa v20, v0, s4 dst_sel:DWORD dst_unused:UNUSED_PAD src0_sel:WORD_0 src1_sel:DWORD
	v_mul_lo_u16_e32 v11, 11, v27
	v_lshlrev_b32_e32 v29, 2, v10
	v_mul_lo_u16_e32 v10, 11, v30
	v_lshrrev_b32_e32 v31, 19, v20
	v_sub_u16_e32 v9, v9, v11
	v_sub_u16_e32 v10, v8, v10
	v_mul_lo_u16_e32 v11, 11, v31
	s_movk_i32 s4, 0x75
	v_sub_u16_e32 v11, v0, v11
	v_lshlrev_b32_e32 v32, 2, v10
	v_mul_lo_u16_sdwa v10, v6, s4 dst_sel:DWORD dst_unused:UNUSED_PAD src0_sel:BYTE_0 src1_sel:DWORD
	v_lshlrev_b32_e32 v33, 2, v11
	v_sub_u16_sdwa v11, v6, v10 dst_sel:DWORD dst_unused:UNUSED_PAD src0_sel:DWORD src1_sel:BYTE_1
	v_lshrrev_b16_e32 v11, 1, v11
	v_and_b32_e32 v11, 0x7f, v11
	v_add_u16_sdwa v10, v11, v10 dst_sel:DWORD dst_unused:UNUSED_PAD src0_sel:DWORD src1_sel:BYTE_1
	v_lshrrev_b16_e32 v37, 3, v10
	v_lshlrev_b32_e32 v9, 2, v9
	v_mul_lo_u16_e32 v10, 11, v37
	s_load_dwordx2 s[2:3], s[2:3], 0x0
	s_waitcnt lgkmcnt(0)
	s_barrier
	global_load_dword v28, v9, s[8:9]
	global_load_dword v34, v33, s[8:9]
	;; [unrolled: 1-line block ×4, first 2 shown]
	v_sub_u16_e32 v10, v6, v10
	v_mov_b32_e32 v23, 2
	v_lshlrev_b32_sdwa v38, v23, v10 dst_sel:DWORD dst_unused:UNUSED_PAD src0_sel:DWORD src1_sel:BYTE_0
	global_load_dword v39, v38, s[8:9]
	v_add_u32_e32 v12, 0xc00, v16
	v_add_u32_e32 v14, 0x1200, v16
	ds_read2_b32 v[10:11], v16 offset1:198
	ds_read2_b32 v[12:13], v12 offset0:24 offset1:222
	ds_read2_b32 v[14:15], v14 offset0:36 offset1:234
	v_add_u32_e32 v24, 0x1800, v16
	s_mov_b32 s10, 0x5040100
	s_movk_i32 s5, 0x58
	v_lshl_add_u32 v18, v8, 2, 0
	v_lshl_add_u32 v17, v0, 2, 0
	ds_read2_b32 v[24:25], v24 offset0:48 offset1:246
	ds_read_b32 v40, v18
	ds_read_b32 v41, v17
	v_perm_b32 v30, v31, v30, s10
	v_mul_u32_u24_e32 v27, 0x58, v27
	v_pk_mul_lo_u16 v30, v30, s5 op_sel_hi:[1,0]
	v_mul_u32_u24_e32 v26, 0x58, v26
	v_and_b32_e32 v31, 0xfff8, v30
	v_add3_u32 v27, 0, v27, v9
	v_mul_u32_u24_e32 v9, 0x58, v37
	v_add3_u32 v26, 0, v26, v29
	v_add3_u32 v29, 0, v31, v32
	;; [unrolled: 1-line block ×3, first 2 shown]
	s_mov_b32 s4, 0xffff
	v_lshrrev_b32_e32 v30, 16, v30
	v_add3_u32 v30, 0, v30, v33
	s_waitcnt lgkmcnt(0)
	s_barrier
	s_waitcnt vmcnt(3)
	v_pk_mul_f16 v32, v34, v24 op_sel:[0,1]
	v_pk_mul_f16 v9, v28, v25 op_sel:[0,1]
	s_waitcnt vmcnt(1)
	v_pk_mul_f16 v37, v36, v14 op_sel:[0,1]
	v_pk_fma_f16 v38, v28, v25, v9 op_sel:[0,0,1] op_sel_hi:[1,0,0] neg_lo:[1,0,0] neg_hi:[1,0,0]
	v_pk_fma_f16 v9, v28, v25, v9 op_sel:[0,0,1] op_sel_hi:[1,0,0]
	v_pk_fma_f16 v25, v34, v24, v32 op_sel:[0,0,1] op_sel_hi:[1,1,0]
	v_pk_fma_f16 v24, v34, v24, v32 op_sel:[0,0,1] op_sel_hi:[1,0,0] neg_lo:[1,0,0] neg_hi:[1,0,0]
	v_pk_fma_f16 v32, v36, v14, v37 op_sel:[0,0,1] op_sel_hi:[1,1,0]
	v_pk_fma_f16 v14, v36, v14, v37 op_sel:[0,0,1] op_sel_hi:[1,0,0] neg_lo:[1,0,0] neg_hi:[1,0,0]
	v_pk_mul_f16 v33, v35, v15 op_sel:[0,1]
	v_bfi_b32 v14, s4, v32, v14
	s_waitcnt vmcnt(0)
	v_pk_mul_f16 v32, v39, v13 op_sel:[0,1]
	v_pk_fma_f16 v28, v35, v15, v33 op_sel:[0,0,1] op_sel_hi:[1,1,0]
	v_pk_fma_f16 v15, v35, v15, v33 op_sel:[0,0,1] op_sel_hi:[1,0,0] neg_lo:[1,0,0] neg_hi:[1,0,0]
	v_pk_fma_f16 v33, v39, v13, v32 op_sel:[0,0,1] op_sel_hi:[1,1,0]
	v_pk_fma_f16 v13, v39, v13, v32 op_sel:[0,0,1] op_sel_hi:[1,0,0] neg_lo:[1,0,0] neg_hi:[1,0,0]
	v_bfi_b32 v9, s4, v9, v38
	v_bfi_b32 v13, s4, v33, v13
	;; [unrolled: 1-line block ×4, first 2 shown]
	v_pk_add_f16 v9, v12, v9 neg_lo:[0,1] neg_hi:[0,1]
	v_pk_add_f16 v13, v10, v13 neg_lo:[0,1] neg_hi:[0,1]
	;; [unrolled: 1-line block ×4, first 2 shown]
	v_pk_fma_f16 v12, v12, 2.0, v9 op_sel_hi:[1,0,1] neg_lo:[0,0,1] neg_hi:[0,0,1]
	v_pk_add_f16 v14, v11, v14 neg_lo:[0,1] neg_hi:[0,1]
	v_pk_fma_f16 v10, v10, 2.0, v13 op_sel_hi:[1,0,1] neg_lo:[0,0,1] neg_hi:[0,0,1]
	v_pk_fma_f16 v25, v41, 2.0, v24 op_sel_hi:[1,0,1] neg_lo:[0,0,1] neg_hi:[0,0,1]
	;; [unrolled: 1-line block ×4, first 2 shown]
	ds_write2_b32 v31, v10, v13 offset1:11
	ds_write2_b32 v26, v11, v14 offset1:11
	;; [unrolled: 1-line block ×5, first 2 shown]
	v_add_u32_e32 v12, 0xa00, v16
	v_add_u32_e32 v14, 0x1400, v16
	s_waitcnt lgkmcnt(0)
	s_barrier
	ds_read2_b32 v[10:11], v16 offset1:198
	ds_read2_b32 v[12:13], v12 offset0:20 offset1:218
	ds_read2_b32 v[14:15], v14 offset0:40 offset1:238
	ds_read_b32 v27, v16 offset:4224
	ds_read_b32 v24, v18
	ds_read_b32 v28, v16 offset:6864
	s_movk_i32 s4, 0x42
	v_cmp_gt_u32_e32 vcc, s4, v6
                                        ; implicit-def: $vgpr30
                                        ; implicit-def: $vgpr29
	s_and_saveexec_b64 s[4:5], vcc
	s_cbranch_execz .LBB0_17
; %bb.16:
	ds_read_b32 v29, v16 offset:7656
	ds_read_b32 v7, v16 offset:5016
	ds_read_b32 v9, v17
	s_waitcnt lgkmcnt(2)
	v_lshrrev_b32_e32 v30, 16, v29
	s_waitcnt lgkmcnt(1)
	v_lshrrev_b32_e32 v19, 16, v7
.LBB0_17:
	s_or_b64 exec, exec, s[4:5]
	v_lshrrev_b16_e32 v25, 1, v6
	v_and_b32_e32 v25, 0x7f, v25
	v_mul_lo_u16_e32 v25, 0xbb, v25
	v_lshrrev_b16_e32 v31, 11, v25
	v_mul_lo_u16_e32 v25, 22, v31
	v_sub_u16_e32 v38, v6, v25
	v_mov_b32_e32 v25, 3
	v_lshlrev_b32_sdwa v25, v25, v38 dst_sel:DWORD dst_unused:UNUSED_PAD src0_sel:DWORD src1_sel:BYTE_0
	v_lshrrev_b32_e32 v41, 20, v22
	v_lshrrev_b32_e32 v39, 20, v21
	global_load_dwordx2 v[32:33], v25, s[8:9] offset:44
	v_mul_lo_u16_e32 v22, 22, v41
	v_lshrrev_b32_e32 v25, 20, v20
	v_mul_lo_u16_e32 v21, 22, v39
	v_sub_u16_e32 v42, v8, v22
	v_mul_lo_u16_e32 v22, 22, v25
	v_sub_u16_e32 v40, v1, v21
	v_sub_u16_e32 v26, v0, v22
	v_lshlrev_b32_e32 v21, 3, v40
	v_lshlrev_b32_e32 v22, 3, v26
	global_load_dwordx2 v[34:35], v21, s[8:9] offset:44
	global_load_dwordx2 v[36:37], v22, s[8:9] offset:44
	v_lshlrev_b32_e32 v21, 3, v42
	global_load_dwordx2 v[20:21], v21, s[8:9] offset:44
	s_waitcnt lgkmcnt(4)
	v_lshrrev_b32_e32 v45, 16, v12
	s_waitcnt lgkmcnt(3)
	v_lshrrev_b32_e32 v46, 16, v14
	v_lshrrev_b32_e32 v47, 16, v13
	;; [unrolled: 1-line block ×3, first 2 shown]
	s_waitcnt lgkmcnt(2)
	v_lshrrev_b32_e32 v49, 16, v27
	s_waitcnt lgkmcnt(0)
	v_lshrrev_b32_e32 v50, 16, v28
	v_lshrrev_b32_e32 v22, 16, v10
	;; [unrolled: 1-line block ×3, first 2 shown]
	s_mov_b32 s4, 0xbaee
	s_movk_i32 s5, 0x3aee
	v_lshrrev_b32_e32 v44, 16, v24
	v_lshlrev_b32_sdwa v23, v23, v38 dst_sel:DWORD dst_unused:UNUSED_PAD src0_sel:DWORD src1_sel:BYTE_0
	s_barrier
	s_waitcnt vmcnt(3)
	v_mul_f16_sdwa v51, v32, v45 dst_sel:DWORD dst_unused:UNUSED_PAD src0_sel:WORD_1 src1_sel:DWORD
	v_mul_f16_sdwa v53, v33, v46 dst_sel:DWORD dst_unused:UNUSED_PAD src0_sel:WORD_1 src1_sel:DWORD
	v_mul_f16_sdwa v52, v32, v12 dst_sel:DWORD dst_unused:UNUSED_PAD src0_sel:WORD_1 src1_sel:DWORD
	v_mul_f16_sdwa v54, v33, v14 dst_sel:DWORD dst_unused:UNUSED_PAD src0_sel:WORD_1 src1_sel:DWORD
	v_fma_f16 v12, v32, v12, v51
	v_fma_f16 v14, v33, v14, v53
	v_fma_f16 v32, v32, v45, -v52
	v_fma_f16 v33, v33, v46, -v54
	v_add_f16_e32 v46, v22, v32
	s_waitcnt vmcnt(2)
	v_mul_f16_sdwa v55, v34, v47 dst_sel:DWORD dst_unused:UNUSED_PAD src0_sel:WORD_1 src1_sel:DWORD
	v_mul_f16_sdwa v56, v34, v13 dst_sel:DWORD dst_unused:UNUSED_PAD src0_sel:WORD_1 src1_sel:DWORD
	v_mul_f16_sdwa v57, v35, v48 dst_sel:DWORD dst_unused:UNUSED_PAD src0_sel:WORD_1 src1_sel:DWORD
	v_mul_f16_sdwa v58, v35, v15 dst_sel:DWORD dst_unused:UNUSED_PAD src0_sel:WORD_1 src1_sel:DWORD
	s_waitcnt vmcnt(1)
	v_mul_f16_sdwa v63, v19, v36 dst_sel:DWORD dst_unused:UNUSED_PAD src0_sel:DWORD src1_sel:WORD_1
	v_mul_f16_sdwa v64, v7, v36 dst_sel:DWORD dst_unused:UNUSED_PAD src0_sel:DWORD src1_sel:WORD_1
	s_waitcnt vmcnt(0)
	v_mul_f16_sdwa v59, v20, v49 dst_sel:DWORD dst_unused:UNUSED_PAD src0_sel:WORD_1 src1_sel:DWORD
	v_mul_f16_sdwa v60, v20, v27 dst_sel:DWORD dst_unused:UNUSED_PAD src0_sel:WORD_1 src1_sel:DWORD
	;; [unrolled: 1-line block ×4, first 2 shown]
	v_mul_f16_sdwa v65, v30, v37 dst_sel:DWORD dst_unused:UNUSED_PAD src0_sel:DWORD src1_sel:WORD_1
	v_mul_f16_sdwa v66, v29, v37 dst_sel:DWORD dst_unused:UNUSED_PAD src0_sel:DWORD src1_sel:WORD_1
	v_fma_f16 v13, v34, v13, v55
	v_fma_f16 v34, v34, v47, -v56
	v_fma_f16 v15, v35, v15, v57
	v_fma_f16 v35, v35, v48, -v58
	;; [unrolled: 2-line block ×3, first 2 shown]
	v_add_f16_e32 v7, v10, v12
	v_add_f16_e32 v19, v12, v14
	v_fma_f16 v27, v20, v27, v59
	v_fma_f16 v20, v20, v49, -v60
	v_fma_f16 v28, v21, v28, v61
	v_fma_f16 v21, v21, v50, -v62
	;; [unrolled: 2-line block ×3, first 2 shown]
	v_sub_f16_e32 v37, v32, v33
	v_add_f16_e32 v32, v32, v33
	v_sub_f16_e32 v12, v12, v14
	v_sub_f16_e32 v49, v34, v35
	v_add_f16_e32 v50, v43, v34
	v_add_f16_e32 v34, v34, v35
	;; [unrolled: 1-line block ×3, first 2 shown]
	v_fma_f16 v7, v19, -0.5, v10
	v_add_f16_e32 v47, v11, v13
	v_add_f16_e32 v10, v46, v33
	v_fma_f16 v19, v32, -0.5, v22
	v_add_f16_e32 v33, v50, v35
	v_fma_f16 v22, v34, -0.5, v43
	v_fma_f16 v34, v37, s4, v7
	v_fma_f16 v35, v37, s5, v7
	v_sub_f16_e32 v7, v13, v15
	v_add_f16_e32 v48, v13, v15
	v_add_f16_e32 v32, v47, v15
	v_fma_f16 v13, v7, s5, v22
	v_fma_f16 v15, v7, s4, v22
	v_add_f16_e32 v7, v24, v27
	v_add_f16_e32 v46, v7, v28
	v_add_f16_e32 v7, v27, v28
	v_fma_f16 v37, v12, s5, v19
	v_fma_f16 v12, v12, s4, v19
	v_fma_f16 v7, v7, -0.5, v24
	v_sub_f16_e32 v19, v20, v21
	v_fma_f16 v24, v19, s4, v7
	v_fma_f16 v47, v19, s5, v7
	v_add_f16_e32 v7, v44, v20
	v_fma_f16 v11, v48, -0.5, v11
	v_add_f16_e32 v48, v7, v21
	v_add_f16_e32 v7, v20, v21
	v_fma_f16 v7, v7, -0.5, v44
	v_sub_f16_e32 v19, v27, v28
	v_fma_f16 v27, v19, s5, v7
	v_fma_f16 v28, v19, s4, v7
	v_add_f16_e32 v19, v45, v29
	v_fma_f16 v19, v19, -0.5, v9
	v_sub_f16_e32 v21, v36, v30
	v_add_f16_e32 v7, v9, v45
	v_fma_f16 v20, v21, s4, v19
	v_fma_f16 v19, v21, s5, v19
	v_lshrrev_b32_e32 v21, 16, v9
	v_add_f16_e32 v22, v36, v30
	v_add_f16_e32 v7, v7, v29
	;; [unrolled: 1-line block ×3, first 2 shown]
	v_fma_f16 v21, v22, -0.5, v21
	v_sub_f16_e32 v29, v45, v29
	v_fma_f16 v22, v29, s5, v21
	v_fma_f16 v21, v29, s4, v21
	v_mul_u32_u24_e32 v29, 0x108, v31
	v_add3_u32 v23, 0, v29, v23
	v_pack_b32_f16 v10, v14, v10
	v_pack_b32_f16 v14, v34, v37
	ds_write2_b32 v23, v10, v14 offset1:22
	v_pack_b32_f16 v10, v35, v12
	v_fma_f16 v43, v49, s4, v11
	v_fma_f16 v11, v49, s5, v11
	ds_write_b32 v23, v10 offset:176
	v_mul_u32_u24_e32 v10, 0x108, v39
	v_lshlrev_b32_e32 v12, 2, v40
	v_add3_u32 v10, 0, v10, v12
	v_pack_b32_f16 v12, v32, v33
	v_pack_b32_f16 v13, v43, v13
	;; [unrolled: 1-line block ×3, first 2 shown]
	ds_write2_b32 v10, v12, v13 offset1:22
	ds_write_b32 v10, v11 offset:176
	v_mul_u32_u24_e32 v10, 0x108, v41
	v_lshlrev_b32_e32 v11, 2, v42
	v_add3_u32 v10, 0, v10, v11
	v_pack_b32_f16 v11, v46, v48
	v_pack_b32_f16 v12, v24, v27
	v_add_f16_e32 v9, v9, v30
	ds_write2_b32 v10, v11, v12 offset1:22
	v_pack_b32_f16 v11, v47, v28
	ds_write_b32 v10, v11 offset:176
	s_and_saveexec_b64 s[4:5], vcc
	s_cbranch_execz .LBB0_19
; %bb.18:
	v_mul_lo_u16_e32 v10, 0x42, v25
	v_lshlrev_b32_e32 v11, 2, v26
	v_lshlrev_b32_e32 v10, 2, v10
	v_add3_u32 v10, 0, v11, v10
	v_perm_b32 v11, v9, v7, s10
	v_perm_b32 v12, v22, v20, s10
	ds_write2_b32 v10, v11, v12 offset1:22
	v_perm_b32 v11, v21, v19, s10
	ds_write_b32 v10, v11 offset:176
.LBB0_19:
	s_or_b64 exec, exec, s[4:5]
	v_add_u32_e32 v12, 0xa00, v16
	v_add_u32_e32 v14, 0x1400, v16
	s_waitcnt lgkmcnt(0)
	s_barrier
	ds_read2_b32 v[10:11], v16 offset1:198
	ds_read2_b32 v[12:13], v12 offset0:20 offset1:218
	ds_read2_b32 v[14:15], v14 offset0:40 offset1:238
	ds_read_b32 v24, v16 offset:4224
	ds_read_b32 v23, v18
	ds_read_b32 v25, v16 offset:6864
	s_and_saveexec_b64 s[4:5], vcc
	s_cbranch_execz .LBB0_21
; %bb.20:
	ds_read_b32 v7, v17
	ds_read_b32 v19, v16 offset:7656
	ds_read_b32 v20, v16 offset:5016
	s_waitcnt lgkmcnt(2)
	v_lshrrev_b32_e32 v9, 16, v7
	s_waitcnt lgkmcnt(1)
	v_lshrrev_b32_e32 v21, 16, v19
	;; [unrolled: 2-line block ×3, first 2 shown]
.LBB0_21:
	s_or_b64 exec, exec, s[4:5]
	s_movk_i32 s4, 0xf9
	v_mul_lo_u16_sdwa v26, v6, s4 dst_sel:DWORD dst_unused:UNUSED_PAD src0_sel:BYTE_0 src1_sel:DWORD
	s_mov_b32 s13, 0xf83f
	v_lshrrev_b16_e32 v32, 14, v26
	v_mul_u32_u24_sdwa v27, v1, s13 dst_sel:DWORD dst_unused:UNUSED_PAD src0_sel:WORD_0 src1_sel:DWORD
	v_mul_lo_u16_e32 v26, 0x42, v32
	v_lshrrev_b32_e32 v34, 22, v27
	v_mul_u32_u24_sdwa v29, v8, s13 dst_sel:DWORD dst_unused:UNUSED_PAD src0_sel:WORD_0 src1_sel:DWORD
	v_sub_u16_e32 v33, v6, v26
	v_mov_b32_e32 v26, 3
	v_mul_lo_u16_e32 v27, 0x42, v34
	v_lshrrev_b32_e32 v35, 22, v29
	v_lshlrev_b32_sdwa v26, v26, v33 dst_sel:DWORD dst_unused:UNUSED_PAD src0_sel:DWORD src1_sel:BYTE_0
	v_sub_u16_e32 v1, v1, v27
	v_mul_lo_u16_e32 v30, 0x42, v35
	global_load_dwordx2 v[26:27], v26, s[8:9] offset:220
	v_lshlrev_b32_e32 v28, 3, v1
	global_load_dwordx2 v[28:29], v28, s[8:9] offset:220
	v_sub_u16_e32 v36, v8, v30
	v_lshlrev_b32_e32 v30, 3, v36
	global_load_dwordx2 v[30:31], v30, s[8:9] offset:220
	s_waitcnt lgkmcnt(4)
	v_lshrrev_b32_e32 v40, 16, v12
	s_waitcnt lgkmcnt(3)
	v_lshrrev_b32_e32 v41, 16, v14
	v_lshrrev_b32_e32 v42, 16, v13
	;; [unrolled: 1-line block ×3, first 2 shown]
	s_waitcnt lgkmcnt(2)
	v_lshrrev_b32_e32 v44, 16, v24
	s_waitcnt lgkmcnt(0)
	v_lshrrev_b32_e32 v45, 16, v25
	v_lshrrev_b32_e32 v38, 16, v11
	;; [unrolled: 1-line block ×4, first 2 shown]
	s_mov_b32 s11, 0xbaee
	s_movk_i32 s12, 0x3aee
	s_barrier
	v_lshlrev_b32_e32 v1, 2, v1
	s_mov_b32 s10, 0xffff
	s_waitcnt vmcnt(2)
	v_mul_f16_sdwa v46, v26, v40 dst_sel:DWORD dst_unused:UNUSED_PAD src0_sel:WORD_1 src1_sel:DWORD
	v_mul_f16_sdwa v48, v27, v41 dst_sel:DWORD dst_unused:UNUSED_PAD src0_sel:WORD_1 src1_sel:DWORD
	;; [unrolled: 1-line block ×4, first 2 shown]
	s_waitcnt vmcnt(1)
	v_mul_f16_sdwa v50, v28, v42 dst_sel:DWORD dst_unused:UNUSED_PAD src0_sel:WORD_1 src1_sel:DWORD
	v_mul_f16_sdwa v51, v28, v13 dst_sel:DWORD dst_unused:UNUSED_PAD src0_sel:WORD_1 src1_sel:DWORD
	;; [unrolled: 1-line block ×4, first 2 shown]
	v_fma_f16 v12, v26, v12, v46
	v_fma_f16 v14, v27, v14, v48
	s_waitcnt vmcnt(0)
	v_mul_f16_sdwa v54, v30, v44 dst_sel:DWORD dst_unused:UNUSED_PAD src0_sel:WORD_1 src1_sel:DWORD
	v_mul_f16_sdwa v55, v30, v24 dst_sel:DWORD dst_unused:UNUSED_PAD src0_sel:WORD_1 src1_sel:DWORD
	;; [unrolled: 1-line block ×4, first 2 shown]
	v_fma_f16 v26, v26, v40, -v47
	v_fma_f16 v27, v27, v41, -v49
	v_fma_f16 v13, v28, v13, v50
	v_fma_f16 v28, v28, v42, -v51
	v_fma_f16 v15, v29, v15, v52
	v_fma_f16 v29, v29, v43, -v53
	v_add_f16_e32 v41, v12, v14
	v_fma_f16 v24, v30, v24, v54
	v_fma_f16 v30, v30, v44, -v55
	v_fma_f16 v25, v31, v25, v56
	v_fma_f16 v31, v31, v45, -v57
	v_add_f16_e32 v40, v10, v12
	v_sub_f16_e32 v42, v26, v27
	v_sub_f16_e32 v46, v28, v29
	v_add_f16_e32 v47, v38, v28
	v_add_f16_e32 v28, v28, v29
	v_fma_f16 v10, v41, -0.5, v10
	v_add_f16_e32 v43, v37, v26
	v_add_f16_e32 v26, v26, v27
	v_sub_f16_e32 v50, v30, v31
	v_fma_f16 v28, v28, -0.5, v38
	v_fma_f16 v38, v42, s11, v10
	v_fma_f16 v10, v42, s12, v10
	v_add_f16_e32 v42, v39, v30
	v_add_f16_e32 v30, v30, v31
	v_sub_f16_e32 v12, v12, v14
	v_add_f16_e32 v48, v23, v24
	v_add_f16_e32 v49, v24, v25
	v_fma_f16 v26, v26, -0.5, v37
	v_add_f16_e32 v42, v42, v31
	v_fma_f16 v30, v30, -0.5, v39
	v_sub_f16_e32 v24, v24, v25
	v_mov_b32_e32 v31, 2
	v_add_f16_e32 v45, v13, v15
	v_add_f16_e32 v14, v40, v14
	v_add_f16_e32 v37, v48, v25
	v_fma_f16 v40, v12, s12, v26
	v_fma_f16 v12, v12, s11, v26
	;; [unrolled: 1-line block ×4, first 2 shown]
	v_mul_u32_u24_e32 v30, 0x318, v32
	v_lshlrev_b32_sdwa v31, v31, v33 dst_sel:DWORD dst_unused:UNUSED_PAD src0_sel:DWORD src1_sel:BYTE_0
	v_add_f16_e32 v44, v11, v13
	v_sub_f16_e32 v13, v13, v15
	v_fma_f16 v11, v45, -0.5, v11
	v_add3_u32 v30, 0, v30, v31
	v_pack_b32_f16 v10, v10, v12
	v_add_f16_e32 v27, v43, v27
	v_add_f16_e32 v15, v44, v15
	;; [unrolled: 1-line block ×3, first 2 shown]
	v_fma_f16 v26, v46, s11, v11
	v_fma_f16 v41, v13, s12, v28
	ds_write_b32 v30, v10 offset:528
	v_mul_u32_u24_e32 v10, 0x318, v34
	v_fma_f16 v11, v46, s12, v11
	v_fma_f16 v13, v13, s11, v28
	v_pack_b32_f16 v14, v14, v27
	v_pack_b32_f16 v27, v38, v40
	v_add3_u32 v1, 0, v10, v1
	v_pack_b32_f16 v10, v15, v29
	v_pack_b32_f16 v12, v26, v41
	v_fma_f16 v23, v49, -0.5, v23
	ds_write2_b32 v30, v14, v27 offset1:66
	ds_write2_b32 v1, v10, v12 offset1:66
	v_pack_b32_f16 v10, v11, v13
	v_fma_f16 v28, v50, s11, v23
	ds_write_b32 v1, v10 offset:528
	v_mul_u32_u24_e32 v1, 0x318, v35
	v_lshlrev_b32_e32 v10, 2, v36
	v_fma_f16 v23, v50, s12, v23
	v_add3_u32 v1, 0, v1, v10
	v_pack_b32_f16 v10, v37, v42
	v_pack_b32_f16 v11, v28, v25
	ds_write2_b32 v1, v10, v11 offset1:66
	v_pack_b32_f16 v10, v23, v24
	ds_write_b32 v1, v10 offset:528
	s_and_saveexec_b64 s[4:5], vcc
	s_cbranch_execz .LBB0_23
; %bb.22:
	v_mul_u32_u24_sdwa v1, v0, s13 dst_sel:DWORD dst_unused:UNUSED_PAD src0_sel:WORD_0 src1_sel:DWORD
	v_lshrrev_b32_e32 v1, 22, v1
	v_mul_lo_u16_e32 v1, 0x42, v1
	v_sub_u16_e32 v1, v0, v1
	v_lshlrev_b32_e32 v10, 3, v1
	global_load_dwordx2 v[10:11], v10, s[8:9] offset:220
	v_lshl_add_u32 v1, v1, 2, 0
	v_add_u32_e32 v12, 0x1a00, v1
	s_waitcnt vmcnt(0)
	v_mul_f16_sdwa v13, v19, v11 dst_sel:DWORD dst_unused:UNUSED_PAD src0_sel:DWORD src1_sel:WORD_1
	v_mul_f16_sdwa v14, v20, v10 dst_sel:DWORD dst_unused:UNUSED_PAD src0_sel:DWORD src1_sel:WORD_1
	;; [unrolled: 1-line block ×4, first 2 shown]
	v_fma_f16 v13, v21, v11, -v13
	v_fma_f16 v14, v22, v10, -v14
	v_fma_f16 v10, v20, v10, v15
	v_fma_f16 v11, v19, v11, v23
	v_add_f16_e32 v19, v7, v10
	v_add_f16_e32 v20, v14, v13
	v_sub_f16_e32 v21, v10, v11
	v_add_f16_e32 v10, v10, v11
	v_add_f16_e32 v15, v9, v14
	v_sub_f16_e32 v14, v14, v13
	v_fma_f16 v9, v20, -0.5, v9
	v_fma_f16 v7, v10, -0.5, v7
	v_add_f16_e32 v13, v15, v13
	v_add_f16_e32 v11, v19, v11
	v_fma_f16 v10, v21, s11, v9
	v_fma_f16 v9, v21, s12, v9
	;; [unrolled: 1-line block ×4, first 2 shown]
	v_pack_b32_f16 v11, v11, v13
	v_pack_b32_f16 v7, v7, v9
	v_pack_b32_f16 v9, v15, v10
	ds_write2_b32 v12, v11, v7 offset0:118 offset1:184
	ds_write_b32 v1, v9 offset:7656
.LBB0_23:
	s_or_b64 exec, exec, s[4:5]
	v_lshlrev_b32_e32 v10, 2, v6
	v_mov_b32_e32 v11, 0
	v_lshl_add_u64 v[12:13], v[10:11], 2, s[8:9]
	s_waitcnt lgkmcnt(0)
	s_barrier
	global_load_dwordx4 v[12:15], v[12:13], off offset:748
	v_add_u32_e32 v1, 0x900, v16
	ds_read2_b32 v[20:21], v16 offset1:198
	v_add_u32_e32 v19, 0xf00, v16
	v_add_u32_e32 v7, 0x1500, v16
	ds_read_b32 v9, v18
	ds_read_b32 v28, v16 offset:7128
	ds_read2_b32 v[22:23], v1 offset0:18 offset1:216
	ds_read2_b32 v[24:25], v19 offset0:30 offset1:228
	;; [unrolled: 1-line block ×3, first 2 shown]
	s_mov_b32 s4, 0xbb9c
	s_movk_i32 s12, 0x3b9c
	s_waitcnt lgkmcnt(2)
	v_lshrrev_b32_e32 v33, 16, v23
	s_waitcnt lgkmcnt(1)
	v_lshrrev_b32_e32 v34, 16, v25
	v_lshrrev_b32_e32 v30, 16, v9
	;; [unrolled: 1-line block ×3, first 2 shown]
	s_waitcnt lgkmcnt(0)
	v_lshrrev_b32_e32 v35, 16, v27
	v_lshrrev_b32_e32 v32, 16, v26
	;; [unrolled: 1-line block ×4, first 2 shown]
	s_mov_b32 s5, 0xb8b4
	s_movk_i32 s13, 0x38b4
	v_lshrrev_b32_e32 v1, 16, v20
	s_movk_i32 s11, 0x34f2
	v_lshrrev_b32_e32 v7, 16, v21
	s_barrier
	s_waitcnt vmcnt(0)
	v_mul_f16_sdwa v39, v13, v33 dst_sel:DWORD dst_unused:UNUSED_PAD src0_sel:WORD_1 src1_sel:DWORD
	v_mul_f16_sdwa v41, v14, v34 dst_sel:DWORD dst_unused:UNUSED_PAD src0_sel:WORD_1 src1_sel:DWORD
	;; [unrolled: 1-line block ×8, first 2 shown]
	v_mul_f16_sdwa v47, v31, v13 dst_sel:DWORD dst_unused:UNUSED_PAD src0_sel:DWORD src1_sel:WORD_1
	v_mul_f16_sdwa v48, v24, v13 dst_sel:DWORD dst_unused:UNUSED_PAD src0_sel:DWORD src1_sel:WORD_1
	v_fma_f16 v23, v13, v23, v39
	v_fma_f16 v25, v14, v25, v41
	v_mul_f16_sdwa v49, v32, v14 dst_sel:DWORD dst_unused:UNUSED_PAD src0_sel:DWORD src1_sel:WORD_1
	v_mul_f16_sdwa v50, v26, v14 dst_sel:DWORD dst_unused:UNUSED_PAD src0_sel:DWORD src1_sel:WORD_1
	v_fma_f16 v9, v12, v9, v37
	v_fma_f16 v30, v12, v30, -v38
	v_fma_f16 v33, v13, v33, -v40
	v_fma_f16 v27, v15, v27, v43
	v_fma_f16 v35, v15, v35, -v44
	v_fma_f16 v24, v24, v13, v47
	v_fma_f16 v13, v31, v13, -v48
	v_add_f16_e32 v31, v23, v25
	v_mul_f16_sdwa v45, v12, v36 dst_sel:DWORD dst_unused:UNUSED_PAD src0_sel:WORD_1 src1_sel:DWORD
	v_mul_f16_sdwa v46, v12, v22 dst_sel:DWORD dst_unused:UNUSED_PAD src0_sel:WORD_1 src1_sel:DWORD
	v_mul_f16_sdwa v51, v29, v15 dst_sel:DWORD dst_unused:UNUSED_PAD src0_sel:DWORD src1_sel:WORD_1
	v_mul_f16_sdwa v52, v28, v15 dst_sel:DWORD dst_unused:UNUSED_PAD src0_sel:DWORD src1_sel:WORD_1
	v_fma_f16 v34, v14, v34, -v42
	v_fma_f16 v26, v26, v14, v49
	v_fma_f16 v14, v32, v14, -v50
	v_sub_f16_e32 v32, v30, v35
	v_add_f16_e32 v39, v9, v27
	v_fma_f16 v31, v31, -0.5, v20
	v_fma_f16 v22, v12, v22, v45
	v_fma_f16 v12, v12, v36, -v46
	v_fma_f16 v28, v28, v15, v51
	v_fma_f16 v15, v29, v15, -v52
	v_add_f16_e32 v29, v20, v9
	v_sub_f16_e32 v36, v33, v34
	v_sub_f16_e32 v37, v9, v23
	v_sub_f16_e32 v38, v27, v25
	v_fma_f16 v20, v39, -0.5, v20
	v_fma_f16 v39, v32, s4, v31
	v_fma_f16 v31, v32, s12, v31
	v_add_f16_e32 v37, v37, v38
	v_fma_f16 v39, v36, s5, v39
	v_fma_f16 v31, v36, s13, v31
	v_sub_f16_e32 v40, v23, v9
	v_sub_f16_e32 v41, v25, v27
	v_add_f16_e32 v29, v29, v23
	v_fma_f16 v39, v37, s11, v39
	v_fma_f16 v31, v37, s11, v31
	v_add_f16_e32 v37, v33, v34
	v_add_f16_e32 v38, v40, v41
	;; [unrolled: 1-line block ×3, first 2 shown]
	v_fma_f16 v40, v36, s12, v20
	v_fma_f16 v20, v36, s4, v20
	v_fma_f16 v37, v37, -0.5, v1
	v_sub_f16_e32 v9, v9, v27
	v_add_f16_e32 v29, v29, v27
	v_fma_f16 v36, v32, s5, v40
	v_fma_f16 v20, v32, s13, v20
	;; [unrolled: 1-line block ×3, first 2 shown]
	v_sub_f16_e32 v23, v23, v25
	v_fma_f16 v36, v38, s11, v36
	v_fma_f16 v20, v38, s11, v20
	;; [unrolled: 1-line block ×3, first 2 shown]
	v_sub_f16_e32 v27, v30, v33
	v_sub_f16_e32 v38, v35, v34
	v_fma_f16 v37, v9, s4, v37
	v_add_f16_e32 v27, v27, v38
	v_fma_f16 v37, v23, s5, v37
	v_fma_f16 v25, v27, s11, v25
	;; [unrolled: 1-line block ×3, first 2 shown]
	v_add_f16_e32 v37, v30, v35
	v_add_f16_e32 v32, v1, v30
	v_fma_f16 v1, v37, -0.5, v1
	v_add_f16_e32 v32, v32, v33
	v_fma_f16 v37, v23, s4, v1
	v_sub_f16_e32 v30, v33, v30
	v_sub_f16_e32 v33, v34, v35
	v_fma_f16 v1, v23, s12, v1
	v_fma_f16 v37, v9, s13, v37
	v_add_f16_e32 v30, v30, v33
	v_fma_f16 v1, v9, s5, v1
	v_add_f16_e32 v23, v24, v26
	v_add_f16_e32 v32, v32, v34
	v_fma_f16 v33, v30, s11, v37
	v_fma_f16 v1, v30, s11, v1
	v_fma_f16 v23, v23, -0.5, v21
	v_sub_f16_e32 v30, v12, v15
	v_add_f16_e32 v32, v32, v35
	v_fma_f16 v34, v30, s4, v23
	v_sub_f16_e32 v35, v13, v14
	v_sub_f16_e32 v37, v22, v24
	;; [unrolled: 1-line block ×3, first 2 shown]
	v_fma_f16 v23, v30, s12, v23
	v_fma_f16 v34, v35, s5, v34
	v_add_f16_e32 v37, v37, v38
	v_fma_f16 v23, v35, s13, v23
	v_fma_f16 v34, v37, s11, v34
	;; [unrolled: 1-line block ×3, first 2 shown]
	v_add_f16_e32 v37, v22, v28
	v_add_f16_e32 v9, v21, v22
	v_fma_f16 v21, v37, -0.5, v21
	v_add_f16_e32 v9, v9, v24
	v_fma_f16 v37, v35, s12, v21
	v_fma_f16 v21, v35, s4, v21
	v_add_f16_e32 v35, v13, v14
	v_add_f16_e32 v9, v9, v26
	v_sub_f16_e32 v38, v24, v22
	v_sub_f16_e32 v40, v26, v28
	v_fma_f16 v35, v35, -0.5, v7
	v_sub_f16_e32 v22, v22, v28
	v_add_f16_e32 v9, v9, v28
	v_fma_f16 v37, v30, s5, v37
	v_add_f16_e32 v38, v38, v40
	v_fma_f16 v21, v30, s13, v21
	v_fma_f16 v28, v22, s12, v35
	v_sub_f16_e32 v24, v24, v26
	v_fma_f16 v37, v38, s11, v37
	v_fma_f16 v21, v38, s11, v21
	;; [unrolled: 1-line block ×3, first 2 shown]
	v_sub_f16_e32 v28, v12, v13
	v_sub_f16_e32 v38, v15, v14
	v_fma_f16 v35, v22, s4, v35
	v_add_f16_e32 v28, v28, v38
	v_fma_f16 v35, v24, s5, v35
	v_fma_f16 v26, v28, s11, v26
	;; [unrolled: 1-line block ×3, first 2 shown]
	v_add_f16_e32 v35, v12, v15
	v_add_f16_e32 v30, v7, v12
	v_fma_f16 v7, v35, -0.5, v7
	v_add_f16_e32 v30, v30, v13
	v_fma_f16 v35, v24, s4, v7
	v_sub_f16_e32 v12, v13, v12
	v_sub_f16_e32 v13, v14, v15
	v_fma_f16 v7, v24, s12, v7
	v_fma_f16 v35, v22, s13, v35
	v_add_f16_e32 v12, v12, v13
	v_fma_f16 v7, v22, s5, v7
	v_add_f16_e32 v30, v30, v14
	v_fma_f16 v13, v12, s11, v35
	v_fma_f16 v7, v12, s11, v7
	v_pack_b32_f16 v12, v29, v32
	v_pack_b32_f16 v14, v39, v25
	v_add_f16_e32 v30, v30, v15
	ds_write2_b32 v16, v12, v14 offset1:198
	v_pack_b32_f16 v12, v36, v33
	v_pack_b32_f16 v1, v20, v1
	v_add_u32_e32 v14, 0x600, v16
	ds_write2_b32 v14, v12, v1 offset0:12 offset1:210
	v_pack_b32_f16 v1, v31, v27
	v_pack_b32_f16 v9, v9, v30
	v_add_u32_e32 v20, 0xc00, v16
	ds_write2_b32 v20, v1, v9 offset0:24 offset1:222
	;; [unrolled: 4-line block ×4, first 2 shown]
	v_mov_b32_e32 v7, v11
	v_lshl_add_u64 v[12:13], v[6:7], 2, s[8:9]
	s_movk_i32 s4, 0x1000
	s_waitcnt lgkmcnt(0)
	s_barrier
	global_load_dword v24, v[12:13], off offset:3916
	v_add_co_u32_e32 v12, vcc, s4, v12
	v_mov_b32_e32 v9, v11
	s_nop 0
	v_addc_co_u32_e32 v13, vcc, 0, v13, vcc
	global_load_dword v25, v[12:13], off offset:612
	v_lshl_add_u64 v[14:15], v[8:9], 2, s[8:9]
	global_load_dword v26, v[14:15], off offset:3916
	v_mov_b32_e32 v1, v11
	v_lshl_add_u64 v[14:15], v[0:1], 2, s[8:9]
	global_load_dword v11, v[12:13], off offset:2988
	global_load_dword v27, v[14:15], off offset:3916
	ds_read2_b32 v[12:13], v16 offset1:198
	ds_read2_b32 v[14:15], v20 offset0:24 offset1:222
	ds_read2_b32 v[20:21], v22 offset0:36 offset1:234
	ds_read_b32 v28, v18
	ds_read_b32 v29, v17
	ds_read2_b32 v[22:23], v23 offset0:48 offset1:246
	s_waitcnt lgkmcnt(0)
	s_barrier
	s_add_u32 s4, s8, 0x1ec4
	s_addc_u32 s5, s9, 0
	v_cmp_ne_u32_e32 vcc, 0, v6
	s_waitcnt vmcnt(4)
	v_pk_mul_f16 v30, v24, v15 op_sel:[0,1]
	s_nop 0
	v_pk_fma_f16 v31, v24, v15, v30 op_sel:[0,0,1] op_sel_hi:[1,1,0]
	v_pk_fma_f16 v15, v24, v15, v30 op_sel:[0,0,1] op_sel_hi:[1,0,0] neg_lo:[1,0,0] neg_hi:[1,0,0]
	s_waitcnt vmcnt(3)
	v_pk_mul_f16 v24, v25, v20 op_sel:[0,1]
	s_nop 0
	v_pk_fma_f16 v30, v25, v20, v24 op_sel:[0,0,1] op_sel_hi:[1,1,0]
	v_pk_fma_f16 v20, v25, v20, v24 op_sel:[0,0,1] op_sel_hi:[1,0,0] neg_lo:[1,0,0] neg_hi:[1,0,0]
	s_waitcnt vmcnt(2)
	v_pk_mul_f16 v24, v26, v21 op_sel:[0,1]
	v_bfi_b32 v15, s10, v31, v15
	v_pk_fma_f16 v25, v26, v21, v24 op_sel:[0,0,1] op_sel_hi:[1,1,0]
	v_pk_fma_f16 v21, v26, v21, v24 op_sel:[0,0,1] op_sel_hi:[1,0,0] neg_lo:[1,0,0] neg_hi:[1,0,0]
	v_bfi_b32 v20, s10, v30, v20
	v_bfi_b32 v21, s10, v25, v21
	s_waitcnt vmcnt(0)
	v_pk_mul_f16 v25, v27, v22 op_sel:[0,1]
	v_pk_add_f16 v15, v12, v15 neg_lo:[0,1] neg_hi:[0,1]
	v_pk_fma_f16 v26, v27, v22, v25 op_sel:[0,0,1] op_sel_hi:[1,1,0]
	v_pk_fma_f16 v22, v27, v22, v25 op_sel:[0,0,1] op_sel_hi:[1,0,0] neg_lo:[1,0,0] neg_hi:[1,0,0]
	v_pk_add_f16 v20, v13, v20 neg_lo:[0,1] neg_hi:[0,1]
	v_bfi_b32 v22, s10, v26, v22
	v_pk_mul_f16 v26, v11, v23 op_sel:[0,1]
	v_pk_fma_f16 v12, v12, 2.0, v15 op_sel_hi:[1,0,1] neg_lo:[0,0,1] neg_hi:[0,0,1]
	v_pk_fma_f16 v27, v11, v23, v26 op_sel:[0,0,1] op_sel_hi:[1,1,0]
	v_pk_fma_f16 v11, v11, v23, v26 op_sel:[0,0,1] op_sel_hi:[1,0,0] neg_lo:[1,0,0] neg_hi:[1,0,0]
	v_pk_fma_f16 v13, v13, 2.0, v20 op_sel_hi:[1,0,1] neg_lo:[0,0,1] neg_hi:[0,0,1]
	v_bfi_b32 v11, s10, v27, v11
	v_pk_add_f16 v21, v28, v21 neg_lo:[0,1] neg_hi:[0,1]
	v_pk_add_f16 v22, v29, v22 neg_lo:[0,1] neg_hi:[0,1]
	;; [unrolled: 1-line block ×3, first 2 shown]
	v_pk_fma_f16 v24, v28, 2.0, v21 op_sel_hi:[1,0,1] neg_lo:[0,0,1] neg_hi:[0,0,1]
	v_pk_fma_f16 v25, v29, 2.0, v22 op_sel_hi:[1,0,1] neg_lo:[0,0,1] neg_hi:[0,0,1]
	;; [unrolled: 1-line block ×3, first 2 shown]
	ds_write2_b32 v16, v12, v13 offset1:198
	ds_write2_b32 v19, v15, v20 offset0:30 offset1:228
	ds_write_b32 v18, v24
	ds_write_b32 v18, v21 offset:3960
	ds_write_b32 v17, v25
	ds_write_b32 v17, v22 offset:3960
	ds_write_b32 v16, v14 offset:3168
	;; [unrolled: 1-line block ×3, first 2 shown]
	s_waitcnt lgkmcnt(0)
	s_barrier
	ds_read_b32 v15, v16
	v_sub_u32_e32 v12, 0, v10
	v_lshl_add_u64 v[10:11], v[6:7], 2, s[4:5]
                                        ; implicit-def: $vgpr14
                                        ; implicit-def: $vgpr7
                                        ; implicit-def: $vgpr13
	s_and_saveexec_b64 s[8:9], vcc
	s_xor_b64 s[8:9], exec, s[8:9]
	s_cbranch_execz .LBB0_25
; %bb.24:
	global_load_dword v7, v[10:11], off
	ds_read_b32 v13, v12 offset:7920
	s_waitcnt lgkmcnt(0)
	v_pk_add_f16 v14, v15, v13 neg_lo:[0,1] neg_hi:[0,1]
	v_pk_add_f16 v13, v13, v15
	s_nop 0
	v_bfi_b32 v15, s10, v14, v13
	v_bfi_b32 v13, s10, v13, v14
	v_pk_mul_f16 v14, v15, 0.5 op_sel_hi:[1,0]
	v_pk_mul_f16 v15, v13, 0.5 op_sel_hi:[1,0]
	s_waitcnt vmcnt(0)
	v_pk_mul_f16 v19, v7, v14 op_sel:[1,0]
	v_pk_mul_f16 v20, v7, v14 op_sel_hi:[0,1]
	v_pk_fma_f16 v7, v13, 0.5, v19 op_sel_hi:[1,0,1]
	v_sub_f16_e32 v13, v15, v19
	v_sub_f16_sdwa v15, v19, v15 dst_sel:DWORD dst_unused:UNUSED_PAD src0_sel:WORD_1 src1_sel:WORD_1
	v_pk_add_f16 v14, v7, v20 op_sel:[0,1] op_sel_hi:[1,0]
	v_pk_add_f16 v19, v7, v20 op_sel:[0,1] op_sel_hi:[1,0] neg_lo:[0,1] neg_hi:[0,1]
	v_sub_f16_sdwa v7, v13, v20 dst_sel:DWORD dst_unused:UNUSED_PAD src0_sel:DWORD src1_sel:WORD_1
	v_bfi_b32 v14, s10, v14, v19
	v_sub_f16_e32 v13, v15, v20
                                        ; implicit-def: $vgpr15
.LBB0_25:
	s_andn2_saveexec_b64 s[8:9], s[8:9]
	s_cbranch_execz .LBB0_27
; %bb.26:
	v_mov_b32_e32 v13, 0
	ds_read_u16 v14, v13 offset:3962
	s_waitcnt lgkmcnt(1)
	v_alignbit_b32 v19, s0, v15, 16
	v_sub_f16_sdwa v7, v15, v15 dst_sel:DWORD dst_unused:UNUSED_PAD src0_sel:DWORD src1_sel:WORD_1
	v_pk_add_f16 v15, v19, v15
	s_waitcnt lgkmcnt(0)
	v_xor_b32_e32 v14, 0x8000, v14
	ds_write_b16 v13, v14 offset:3962
	v_pack_b32_f16 v14, v15, 0
.LBB0_27:
	s_or_b64 exec, exec, s[8:9]
	s_waitcnt lgkmcnt(0)
	global_load_dword v15, v[10:11], off offset:792
	v_lshl_add_u64 v[8:9], v[8:9], 2, s[4:5]
	global_load_dword v8, v[8:9], off
	v_lshl_add_u64 v[0:1], v[0:1], 2, s[4:5]
	global_load_dword v9, v[10:11], off offset:3168
	global_load_dword v19, v[0:1], off
	ds_write_b16 v12, v13 offset:7922
	ds_write_b32 v16, v14
	ds_write_b16 v12, v7 offset:7920
	ds_read_b32 v0, v16 offset:792
	ds_read_b32 v1, v12 offset:7128
	s_mov_b32 s4, 0xffff
	s_waitcnt lgkmcnt(0)
	v_pk_add_f16 v7, v0, v1 neg_lo:[0,1] neg_hi:[0,1]
	v_pk_add_f16 v0, v0, v1
	s_nop 0
	v_bfi_b32 v1, s4, v7, v0
	v_bfi_b32 v0, s4, v0, v7
	v_pk_mul_f16 v1, v1, 0.5 op_sel_hi:[1,0]
	v_pk_mul_f16 v7, v0, 0.5 op_sel_hi:[1,0]
	s_waitcnt vmcnt(3)
	v_pk_mul_f16 v10, v15, v1 op_sel:[1,0]
	v_pk_mul_f16 v1, v15, v1 op_sel_hi:[0,1]
	v_pk_fma_f16 v0, v0, 0.5, v10 op_sel_hi:[1,0,1]
	v_sub_f16_e32 v11, v7, v10
	v_sub_f16_sdwa v7, v10, v7 dst_sel:DWORD dst_unused:UNUSED_PAD src0_sel:WORD_1 src1_sel:WORD_1
	v_pk_add_f16 v10, v0, v1 op_sel:[0,1] op_sel_hi:[1,0]
	v_pk_add_f16 v0, v0, v1 op_sel:[0,1] op_sel_hi:[1,0] neg_lo:[0,1] neg_hi:[0,1]
	v_sub_f16_sdwa v11, v11, v1 dst_sel:DWORD dst_unused:UNUSED_PAD src0_sel:DWORD src1_sel:WORD_1
	v_sub_f16_e32 v1, v7, v1
	v_bfi_b32 v0, s4, v10, v0
	ds_write_b16 v12, v1 offset:7130
	ds_write_b32 v16, v0 offset:792
	ds_write_b16 v12, v11 offset:7128
	ds_read_b32 v0, v18
	ds_read_b32 v1, v12 offset:6336
	s_waitcnt lgkmcnt(0)
	v_pk_add_f16 v7, v0, v1 neg_lo:[0,1] neg_hi:[0,1]
	v_pk_add_f16 v0, v0, v1
	s_nop 0
	v_bfi_b32 v1, s4, v7, v0
	v_bfi_b32 v0, s4, v0, v7
	v_pk_mul_f16 v1, v1, 0.5 op_sel_hi:[1,0]
	v_pk_mul_f16 v7, v0, 0.5 op_sel_hi:[1,0]
	s_waitcnt vmcnt(2)
	v_pk_mul_f16 v10, v8, v1 op_sel:[1,0]
	v_pk_mul_f16 v1, v8, v1 op_sel_hi:[0,1]
	v_pk_fma_f16 v0, v0, 0.5, v10 op_sel_hi:[1,0,1]
	v_sub_f16_e32 v8, v7, v10
	v_sub_f16_sdwa v7, v10, v7 dst_sel:DWORD dst_unused:UNUSED_PAD src0_sel:WORD_1 src1_sel:WORD_1
	v_pk_add_f16 v10, v0, v1 op_sel:[0,1] op_sel_hi:[1,0]
	v_pk_add_f16 v0, v0, v1 op_sel:[0,1] op_sel_hi:[1,0] neg_lo:[0,1] neg_hi:[0,1]
	v_sub_f16_sdwa v8, v8, v1 dst_sel:DWORD dst_unused:UNUSED_PAD src0_sel:DWORD src1_sel:WORD_1
	v_sub_f16_e32 v1, v7, v1
	v_bfi_b32 v0, s4, v10, v0
	ds_write_b16 v12, v1 offset:6338
	ds_write_b32 v18, v0
	ds_write_b16 v12, v8 offset:6336
	ds_read_b32 v0, v17
	ds_read_b32 v1, v12 offset:5544
	s_waitcnt lgkmcnt(0)
	v_pk_add_f16 v7, v0, v1 neg_lo:[0,1] neg_hi:[0,1]
	v_pk_add_f16 v0, v0, v1
	s_nop 0
	v_bfi_b32 v1, s4, v7, v0
	v_bfi_b32 v0, s4, v0, v7
	v_pk_mul_f16 v1, v1, 0.5 op_sel_hi:[1,0]
	v_pk_mul_f16 v7, v0, 0.5 op_sel_hi:[1,0]
	s_waitcnt vmcnt(0)
	v_pk_mul_f16 v8, v19, v1 op_sel:[1,0]
	v_pk_mul_f16 v1, v19, v1 op_sel_hi:[0,1]
	v_pk_fma_f16 v0, v0, 0.5, v8 op_sel_hi:[1,0,1]
	v_sub_f16_e32 v10, v7, v8
	v_sub_f16_sdwa v7, v8, v7 dst_sel:DWORD dst_unused:UNUSED_PAD src0_sel:WORD_1 src1_sel:WORD_1
	v_pk_add_f16 v8, v0, v1 op_sel:[0,1] op_sel_hi:[1,0]
	v_pk_add_f16 v0, v0, v1 op_sel:[0,1] op_sel_hi:[1,0] neg_lo:[0,1] neg_hi:[0,1]
	v_sub_f16_sdwa v10, v10, v1 dst_sel:DWORD dst_unused:UNUSED_PAD src0_sel:DWORD src1_sel:WORD_1
	v_sub_f16_e32 v1, v7, v1
	v_bfi_b32 v0, s4, v8, v0
	ds_write_b16 v12, v1 offset:5546
	ds_write_b32 v17, v0
	ds_write_b16 v12, v10 offset:5544
	ds_read_b32 v0, v16 offset:3168
	ds_read_b32 v1, v12 offset:4752
	s_waitcnt lgkmcnt(0)
	v_pk_add_f16 v7, v0, v1 neg_lo:[0,1] neg_hi:[0,1]
	v_pk_add_f16 v0, v0, v1
	s_nop 0
	v_bfi_b32 v1, s4, v7, v0
	v_bfi_b32 v0, s4, v0, v7
	v_pk_mul_f16 v1, v1, 0.5 op_sel_hi:[1,0]
	v_pk_mul_f16 v0, v0, 0.5 op_sel_hi:[1,0]
	v_pk_mul_f16 v8, v9, v1 op_sel_hi:[0,1]
	v_pk_fma_f16 v7, v9, v1, v0 op_sel:[1,0,0]
	v_pk_fma_f16 v10, v9, v1, v0 op_sel:[1,0,0] neg_lo:[1,0,0] neg_hi:[1,0,0]
	v_pk_fma_f16 v0, v9, v1, v0 op_sel:[1,0,0] neg_lo:[0,0,1] neg_hi:[0,0,1]
	v_pk_add_f16 v1, v7, v8 op_sel:[0,1] op_sel_hi:[1,0]
	v_pk_add_f16 v7, v7, v8 op_sel:[0,1] op_sel_hi:[1,0] neg_lo:[0,1] neg_hi:[0,1]
	v_pk_add_f16 v9, v10, v8 op_sel:[0,1] op_sel_hi:[1,0] neg_lo:[0,1] neg_hi:[0,1]
	;; [unrolled: 1-line block ×3, first 2 shown]
	v_bfi_b32 v1, s4, v1, v7
	v_bfi_b32 v0, s4, v9, v0
	ds_write_b32 v16, v1 offset:3168
	ds_write_b32 v12, v0 offset:4752
	s_waitcnt lgkmcnt(0)
	s_barrier
	s_and_saveexec_b64 s[4:5], s[0:1]
	s_cbranch_execz .LBB0_30
; %bb.28:
	v_mul_lo_u32 v7, s3, v4
	v_mul_lo_u32 v5, s2, v5
	v_mad_u64_u32 v[0:1], s[0:1], s2, v4, 0
	v_lshl_add_u32 v10, v6, 2, 0
	v_add3_u32 v1, v1, v5, v7
	ds_read2_b32 v[4:5], v10 offset1:198
	v_lshl_add_u64 v[0:1], v[0:1], 2, s[6:7]
	v_mov_b32_e32 v7, 0
	v_lshl_add_u64 v[0:1], v[2:3], 2, v[0:1]
	v_lshl_add_u64 v[2:3], v[6:7], 2, v[0:1]
	s_waitcnt lgkmcnt(0)
	global_store_dword v[2:3], v4, off
	v_add_u32_e32 v4, 0x600, v10
	ds_read2_b32 v[8:9], v4 offset0:12 offset1:210
	v_add_u32_e32 v2, 0xc6, v6
	v_mov_b32_e32 v3, v7
	v_lshl_add_u64 v[2:3], v[2:3], 2, v[0:1]
	global_store_dword v[2:3], v5, off
	v_add_u32_e32 v2, 0x18c, v6
	v_mov_b32_e32 v3, v7
	v_add_u32_e32 v4, 0xc00, v10
	v_lshl_add_u64 v[2:3], v[2:3], 2, v[0:1]
	ds_read2_b32 v[4:5], v4 offset0:24 offset1:222
	s_waitcnt lgkmcnt(1)
	global_store_dword v[2:3], v8, off
	v_add_u32_e32 v2, 0x252, v6
	v_mov_b32_e32 v3, v7
	v_lshl_add_u64 v[2:3], v[2:3], 2, v[0:1]
	global_store_dword v[2:3], v9, off
	v_add_u32_e32 v2, 0x318, v6
	v_mov_b32_e32 v3, v7
	v_lshl_add_u64 v[2:3], v[2:3], 2, v[0:1]
	s_waitcnt lgkmcnt(0)
	global_store_dword v[2:3], v4, off
	v_add_u32_e32 v4, 0x1200, v10
	ds_read2_b32 v[8:9], v4 offset0:36 offset1:234
	v_add_u32_e32 v2, 0x3de, v6
	v_mov_b32_e32 v3, v7
	v_lshl_add_u64 v[2:3], v[2:3], 2, v[0:1]
	global_store_dword v[2:3], v5, off
	v_add_u32_e32 v2, 0x4a4, v6
	v_mov_b32_e32 v3, v7
	v_add_u32_e32 v4, 0x1800, v10
	v_lshl_add_u64 v[2:3], v[2:3], 2, v[0:1]
	ds_read2_b32 v[4:5], v4 offset0:48 offset1:246
	s_waitcnt lgkmcnt(1)
	global_store_dword v[2:3], v8, off
	v_add_u32_e32 v2, 0x56a, v6
	v_mov_b32_e32 v3, v7
	v_lshl_add_u64 v[2:3], v[2:3], 2, v[0:1]
	global_store_dword v[2:3], v9, off
	v_add_u32_e32 v2, 0x630, v6
	v_mov_b32_e32 v3, v7
	v_lshl_add_u64 v[2:3], v[2:3], 2, v[0:1]
	s_waitcnt lgkmcnt(0)
	global_store_dword v[2:3], v4, off
	v_add_u32_e32 v2, 0x6f6, v6
	v_mov_b32_e32 v3, v7
	s_movk_i32 s0, 0xc5
	v_lshl_add_u64 v[2:3], v[2:3], 2, v[0:1]
	v_cmp_eq_u32_e32 vcc, s0, v6
	global_store_dword v[2:3], v5, off
	s_and_b64 exec, exec, vcc
	s_cbranch_execz .LBB0_30
; %bb.29:
	ds_read_b32 v2, v7 offset:7920
	v_add_co_u32_e32 v0, vcc, 0x1000, v0
	s_nop 1
	v_addc_co_u32_e32 v1, vcc, 0, v1, vcc
	s_waitcnt lgkmcnt(0)
	global_store_dword v[0:1], v2, off offset:3824
.LBB0_30:
	s_endpgm
	.section	.rodata,"a",@progbits
	.p2align	6, 0x0
	.amdhsa_kernel fft_rtc_back_len1980_factors_11_2_3_3_5_2_wgs_198_tpt_198_halfLds_half_op_CI_CI_unitstride_sbrr_R2C_dirReg
		.amdhsa_group_segment_fixed_size 0
		.amdhsa_private_segment_fixed_size 0
		.amdhsa_kernarg_size 104
		.amdhsa_user_sgpr_count 2
		.amdhsa_user_sgpr_dispatch_ptr 0
		.amdhsa_user_sgpr_queue_ptr 0
		.amdhsa_user_sgpr_kernarg_segment_ptr 1
		.amdhsa_user_sgpr_dispatch_id 0
		.amdhsa_user_sgpr_kernarg_preload_length 0
		.amdhsa_user_sgpr_kernarg_preload_offset 0
		.amdhsa_user_sgpr_private_segment_size 0
		.amdhsa_uses_dynamic_stack 0
		.amdhsa_enable_private_segment 0
		.amdhsa_system_sgpr_workgroup_id_x 1
		.amdhsa_system_sgpr_workgroup_id_y 0
		.amdhsa_system_sgpr_workgroup_id_z 0
		.amdhsa_system_sgpr_workgroup_info 0
		.amdhsa_system_vgpr_workitem_id 0
		.amdhsa_next_free_vgpr 88
		.amdhsa_next_free_sgpr 28
		.amdhsa_accum_offset 88
		.amdhsa_reserve_vcc 1
		.amdhsa_float_round_mode_32 0
		.amdhsa_float_round_mode_16_64 0
		.amdhsa_float_denorm_mode_32 3
		.amdhsa_float_denorm_mode_16_64 3
		.amdhsa_dx10_clamp 1
		.amdhsa_ieee_mode 1
		.amdhsa_fp16_overflow 0
		.amdhsa_tg_split 0
		.amdhsa_exception_fp_ieee_invalid_op 0
		.amdhsa_exception_fp_denorm_src 0
		.amdhsa_exception_fp_ieee_div_zero 0
		.amdhsa_exception_fp_ieee_overflow 0
		.amdhsa_exception_fp_ieee_underflow 0
		.amdhsa_exception_fp_ieee_inexact 0
		.amdhsa_exception_int_div_zero 0
	.end_amdhsa_kernel
	.text
.Lfunc_end0:
	.size	fft_rtc_back_len1980_factors_11_2_3_3_5_2_wgs_198_tpt_198_halfLds_half_op_CI_CI_unitstride_sbrr_R2C_dirReg, .Lfunc_end0-fft_rtc_back_len1980_factors_11_2_3_3_5_2_wgs_198_tpt_198_halfLds_half_op_CI_CI_unitstride_sbrr_R2C_dirReg
                                        ; -- End function
	.section	.AMDGPU.csdata,"",@progbits
; Kernel info:
; codeLenInByte = 10012
; NumSgprs: 34
; NumVgprs: 88
; NumAgprs: 0
; TotalNumVgprs: 88
; ScratchSize: 0
; MemoryBound: 0
; FloatMode: 240
; IeeeMode: 1
; LDSByteSize: 0 bytes/workgroup (compile time only)
; SGPRBlocks: 4
; VGPRBlocks: 10
; NumSGPRsForWavesPerEU: 34
; NumVGPRsForWavesPerEU: 88
; AccumOffset: 88
; Occupancy: 5
; WaveLimiterHint : 1
; COMPUTE_PGM_RSRC2:SCRATCH_EN: 0
; COMPUTE_PGM_RSRC2:USER_SGPR: 2
; COMPUTE_PGM_RSRC2:TRAP_HANDLER: 0
; COMPUTE_PGM_RSRC2:TGID_X_EN: 1
; COMPUTE_PGM_RSRC2:TGID_Y_EN: 0
; COMPUTE_PGM_RSRC2:TGID_Z_EN: 0
; COMPUTE_PGM_RSRC2:TIDIG_COMP_CNT: 0
; COMPUTE_PGM_RSRC3_GFX90A:ACCUM_OFFSET: 21
; COMPUTE_PGM_RSRC3_GFX90A:TG_SPLIT: 0
	.text
	.p2alignl 6, 3212836864
	.fill 256, 4, 3212836864
	.type	__hip_cuid_3cf35d0dc1c47659,@object ; @__hip_cuid_3cf35d0dc1c47659
	.section	.bss,"aw",@nobits
	.globl	__hip_cuid_3cf35d0dc1c47659
__hip_cuid_3cf35d0dc1c47659:
	.byte	0                               ; 0x0
	.size	__hip_cuid_3cf35d0dc1c47659, 1

	.ident	"AMD clang version 19.0.0git (https://github.com/RadeonOpenCompute/llvm-project roc-6.4.0 25133 c7fe45cf4b819c5991fe208aaa96edf142730f1d)"
	.section	".note.GNU-stack","",@progbits
	.addrsig
	.addrsig_sym __hip_cuid_3cf35d0dc1c47659
	.amdgpu_metadata
---
amdhsa.kernels:
  - .agpr_count:     0
    .args:
      - .actual_access:  read_only
        .address_space:  global
        .offset:         0
        .size:           8
        .value_kind:     global_buffer
      - .offset:         8
        .size:           8
        .value_kind:     by_value
      - .actual_access:  read_only
        .address_space:  global
        .offset:         16
        .size:           8
        .value_kind:     global_buffer
      - .actual_access:  read_only
        .address_space:  global
        .offset:         24
        .size:           8
        .value_kind:     global_buffer
      - .actual_access:  read_only
        .address_space:  global
        .offset:         32
        .size:           8
        .value_kind:     global_buffer
      - .offset:         40
        .size:           8
        .value_kind:     by_value
      - .actual_access:  read_only
        .address_space:  global
        .offset:         48
        .size:           8
        .value_kind:     global_buffer
      - .actual_access:  read_only
        .address_space:  global
        .offset:         56
        .size:           8
        .value_kind:     global_buffer
      - .offset:         64
        .size:           4
        .value_kind:     by_value
      - .actual_access:  read_only
        .address_space:  global
        .offset:         72
        .size:           8
        .value_kind:     global_buffer
      - .actual_access:  read_only
        .address_space:  global
        .offset:         80
        .size:           8
        .value_kind:     global_buffer
      - .actual_access:  read_only
        .address_space:  global
        .offset:         88
        .size:           8
        .value_kind:     global_buffer
      - .actual_access:  write_only
        .address_space:  global
        .offset:         96
        .size:           8
        .value_kind:     global_buffer
    .group_segment_fixed_size: 0
    .kernarg_segment_align: 8
    .kernarg_segment_size: 104
    .language:       OpenCL C
    .language_version:
      - 2
      - 0
    .max_flat_workgroup_size: 198
    .name:           fft_rtc_back_len1980_factors_11_2_3_3_5_2_wgs_198_tpt_198_halfLds_half_op_CI_CI_unitstride_sbrr_R2C_dirReg
    .private_segment_fixed_size: 0
    .sgpr_count:     34
    .sgpr_spill_count: 0
    .symbol:         fft_rtc_back_len1980_factors_11_2_3_3_5_2_wgs_198_tpt_198_halfLds_half_op_CI_CI_unitstride_sbrr_R2C_dirReg.kd
    .uniform_work_group_size: 1
    .uses_dynamic_stack: false
    .vgpr_count:     88
    .vgpr_spill_count: 0
    .wavefront_size: 64
amdhsa.target:   amdgcn-amd-amdhsa--gfx950
amdhsa.version:
  - 1
  - 2
...

	.end_amdgpu_metadata
